;; amdgpu-corpus repo=ROCm/aiter kind=harvested arch=n/a opt=n/a

/root/src/amdgpu-assembly/repos/ROCm__aiter/hsa/gfx942/fmoe_2stages/fmoe_stage1_bf16_pertokenFp8_doweight_g1u1_64x256_pf3.co:	file format elf64-amdgpu

Disassembly of section .text:

0000000000002a00 <_ZN5aiter53fmoe_stage1_bf16_pertokenFp8_doweight_g1u1_64x256_pf3E>:
	s_and_b32 s1, s1, 0xffff                                   // 000000002A00: 8601FF01 0000FFFF
	s_load_dwordx2 s[8:9], s[0:1], 0x0                         // 000000002A08: C0060200 00000000
	s_load_dwordx2 s[20:21], s[0:1], 0x10                      // 000000002A10: C0060500 00000010
	s_load_dwordx2 s[24:25], s[0:1], 0x20                      // 000000002A18: C0060600 00000020
	s_load_dwordx2 s[48:49], s[0:1], 0x30                      // 000000002A20: C0060C00 00000030
	s_load_dwordx2 s[28:29], s[0:1], 0x40                      // 000000002A28: C0060700 00000040
	s_load_dwordx2 s[32:33], s[0:1], 0x50                      // 000000002A30: C0060800 00000050
	s_load_dwordx2 s[36:37], s[0:1], 0x60                      // 000000002A38: C0060900 00000060
	s_load_dwordx2 s[12:13], s[0:1], 0x70                      // 000000002A40: C0060300 00000070
	s_load_dwordx2 s[44:45], s[0:1], 0x80                      // 000000002A48: C0060B00 00000080
	s_mov_b32 s89, 0                                           // 000000002A50: BED90080
	s_load_dword s64, s[0:1], 0x90                             // 000000002A54: C0021000 00000090
	s_load_dword s65, s[0:1], 0xa0                             // 000000002A5C: C0021040 000000A0
	s_load_dword s66, s[0:1], 0xb0                             // 000000002A64: C0021080 000000B0
	s_load_dword s67, s[0:1], 0xc0                             // 000000002A6C: C00210C0 000000C0
	s_load_dword s68, s[0:1], 0xd0                             // 000000002A74: C0021100 000000D0
	s_load_dword s69, s[0:1], 0xe0                             // 000000002A7C: C0021140 000000E0
	s_load_dword s71, s[0:1], 0xf0                             // 000000002A84: C00211C0 000000F0
	s_load_dword s72, s[0:1], 0x100                            // 000000002A8C: C0021200 00000100
	s_load_dword s74, s[0:1], 0x110                            // 000000002A94: C0021280 00000110
	s_load_dword s76, s[0:1], 0x120                            // 000000002A9C: C0021300 00000120
	s_load_dword s56, s[0:1], 0x130                            // 000000002AA4: C0020E00 00000130
	s_load_dword s88, s[0:1], 0x140                            // 000000002AAC: C0021600 00000140
	s_load_dword s89, s[0:1], 0x150                            // 000000002AB4: C0021640 00000150
	s_load_dwordx2 s[40:41], s[0:1], 0x160                     // 000000002ABC: C0060A00 00000160
	v_lshrrev_b32_e32 v1, 10, v0                               // 000000002AC4: 2002008A
	v_lshrrev_b32_e32 v2, 10, v1                               // 000000002AC8: 2004028A
	v_and_b32_e32 v2, 0x3ff, v2                                // 000000002ACC: 260404FF 000003FF
	v_and_b32_e32 v1, 0x3ff, v1                                // 000000002AD4: 260202FF 000003FF
	v_and_b32_e32 v0, 0x3ff, v0                                // 000000002ADC: 260000FF 000003FF
	v_lshrrev_b32_e32 v3, 6, v0                                // 000000002AE4: 20060086
	v_and_b32_e32 v0, 63, v0                                   // 000000002AE8: 260000BF
	s_mov_b32 s2, s2                                           // 000000002AEC: BE820002
	s_mov_b32 s3, s3                                           // 000000002AF0: BE830003
	s_mov_b32 s4, s4                                           // 000000002AF4: BE840004
	v_readfirstlane_b32 s7, v3                                 // 000000002AF8: 7E0E0503
	s_waitcnt lgkmcnt(0)                                       // 000000002AFC: BF8CC07F
	s_and_b32 s49, s49, 0xffff                                 // 000000002B00: 8631FF31 0000FFFF
	s_load_dword s48, s[48:49], 0x0                            // 000000002B08: C0020C18 00000000
	s_and_b32 s45, s45, 0xffff                                 // 000000002B10: 862DFF2D 0000FFFF
	s_and_b32 s9, s9, 0xffff                                   // 000000002B18: 8609FF09 0000FFFF
	s_mul_i32 s60, s66, s68                                    // 000000002B20: 923C4442
	s_mul_i32 s61, s66, 4                                      // 000000002B24: 923D8442
	s_mov_b32 s22, s60                                         // 000000002B28: BE96003C
	s_mov_b32 s26, -16                                         // 000000002B2C: BE9A00D0
	s_mov_b32 s30, s61                                         // 000000002B30: BE9E003D
	s_mov_b32 s14, 0x100                                       // 000000002B34: BE8E00FF 00000100
	s_mov_b32 s38, -16                                         // 000000002B3C: BEA600D0
	s_mov_b32 s10, -16                                         // 000000002B40: BE8A00D0
	s_mov_b32 s34, 0x400                                       // 000000002B44: BEA200FF 00000400
	s_mov_b32 s23, 0x20000                                     // 000000002B4C: BE9700FF 00020000
	s_mov_b32 s27, 0x20000                                     // 000000002B54: BE9B00FF 00020000
	s_mov_b32 s31, 0x20000                                     // 000000002B5C: BE9F00FF 00020000
	s_mov_b32 s35, 0x20000                                     // 000000002B64: BEA300FF 00020000
	s_mov_b32 s15, 0x20000                                     // 000000002B6C: BE8F00FF 00020000
	s_mov_b32 s39, 0x20000                                     // 000000002B74: BEA700FF 00020000
	s_mov_b32 s11, 0x20000                                     // 000000002B7C: BE8B00FF 00020000
	s_and_b32 s21, s21, 0xffff                                 // 000000002B84: 8615FF15 0000FFFF
	s_and_b32 s25, s25, 0xffff                                 // 000000002B8C: 8619FF19 0000FFFF
	s_and_b32 s29, s29, 0xffff                                 // 000000002B94: 861DFF1D 0000FFFF
	s_and_b32 s33, s33, 0xffff                                 // 000000002B9C: 8621FF21 0000FFFF
	s_and_b32 s13, s13, 0xffff                                 // 000000002BA4: 860DFF0D 0000FFFF
	s_and_b32 s37, s37, 0xffff                                 // 000000002BAC: 8625FF25 0000FFFF
	s_or_b32 s21, s21, 0x40000                                 // 000000002BB4: 8715FF15 00040000
	s_or_b32 s25, s25, 0x40000                                 // 000000002BBC: 8719FF19 00040000
	s_or_b32 s29, s29, 0x40000                                 // 000000002BC4: 871DFF1D 00040000
	s_or_b32 s33, s33, 0x40000                                 // 000000002BCC: 8721FF21 00040000
	s_or_b32 s13, s13, 0x40000                                 // 000000002BD4: 870DFF0D 00040000
	s_or_b32 s37, s37, 0x40000                                 // 000000002BDC: 8725FF25 00040000
	s_mov_b32 s42, -16                                         // 000000002BE4: BEAA00D0
	s_mov_b32 s43, 0x20000                                     // 000000002BE8: BEAB00FF 00020000
	s_and_b32 s41, s41, 0xffff                                 // 000000002BF0: 8629FF29 0000FFFF
	s_or_b32 s41, s41, 0x40000                                 // 000000002BF8: 8729FF29 00040000
	v_accvgpr_write_b32 a159, 0                                // 000000002C00: D3D9409F 18000080
	v_mov_b32_e32 v191, 0                                      // 000000002C08: 7F7E0280
	s_waitcnt lgkmcnt(0)                                       // 000000002C0C: BF8CC07F
	s_mul_i32 s60, s3, 64                                      // 000000002C10: 923CC003
	s_cmp_lt_i32 s60, s48                                      // 000000002C14: BF04303C
	s_cbranch_scc0 label_31DD                                  // 000000002C18: BF843153
	s_mov_b32 s80, 0                                           // 000000002C1C: BED00080
	s_lshr_b32 s81, s64, s88                                   // 000000002C20: 8F515840
	s_mul_i32 s60, s3, 4                                       // 000000002C24: 923C8403
	s_add_u32 s44, s60, s44                                    // 000000002C28: 802C2C3C
	s_addc_u32 s45, 0, s45                                     // 000000002C2C: 822D2D80
	s_load_dword s5, s[44:45], 0x0                             // 000000002C30: C0020156 00000000
	s_mul_i32 s60, s3, 64                                      // 000000002C38: 923CC003
	s_mul_i32 s60, 4, s60                                      // 000000002C3C: 923C3C84
	s_add_u32 s12, s60, s12                                    // 000000002C40: 800C0C3C
	s_addc_u32 s13, 0, s13                                     // 000000002C44: 820D0D80
	v_and_b32_e32 v4, 15, v0                                   // 000000002C48: 2608008F
	v_lshlrev_b32_e32 v4, 2, v4                                // 000000002C4C: 24080882
	buffer_load_dword v30, v4, s[12:15], 0 offen               // 000000002C50: E0501000 80031E04
	v_add_u32_e32 v4, 64, v4                                   // 000000002C58: 680808C0
	buffer_load_dword v31, v4, s[12:15], 0 offen               // 000000002C5C: E0501000 80031F04
	v_add_u32_e32 v4, 64, v4                                   // 000000002C64: 680808C0
	buffer_load_dword v32, v4, s[12:15], 0 offen               // 000000002C68: E0501000 80032004
	v_add_u32_e32 v4, 64, v4                                   // 000000002C70: 680808C0
	buffer_load_dword v33, v4, s[12:15], 0 offen               // 000000002C74: E0501000 80032104
	v_add_u32_e32 v4, 64, v4                                   // 000000002C7C: 680808C0
	s_mul_i32 s60, 4, s7                                       // 000000002C80: 923C0784
	v_lshlrev_b32_e32 v4, 4, v0                                // 000000002C84: 24080084
	v_add_u32_e32 v4, s60, v4                                  // 000000002C88: 6808083C
	buffer_load_dword v3, v4, s[12:15], 0 offen                // 000000002C8C: E0501000 80030304
	v_mov_b32_e32 v60, 0                                       // 000000002C94: 7E780280
	v_mov_b32_e32 v124, 0                                      // 000000002C98: 7EF80280
	v_mov_b32_e32 v61, 0                                       // 000000002C9C: 7E7A0280
	v_mov_b32_e32 v125, 0                                      // 000000002CA0: 7EFA0280
	v_mov_b32_e32 v62, 0                                       // 000000002CA4: 7E7C0280
	v_mov_b32_e32 v126, 0                                      // 000000002CA8: 7EFC0280
	v_mov_b32_e32 v63, 0                                       // 000000002CAC: 7E7E0280
	v_mov_b32_e32 v127, 0                                      // 000000002CB0: 7EFE0280
	v_mov_b32_e32 v64, 0                                       // 000000002CB4: 7E800280
	v_mov_b32_e32 v128, 0                                      // 000000002CB8: 7F000280
	v_mov_b32_e32 v65, 0                                       // 000000002CBC: 7E820280
	v_mov_b32_e32 v129, 0                                      // 000000002CC0: 7F020280
	v_mov_b32_e32 v66, 0                                       // 000000002CC4: 7E840280
	v_mov_b32_e32 v130, 0                                      // 000000002CC8: 7F040280
	v_mov_b32_e32 v67, 0                                       // 000000002CCC: 7E860280
	v_mov_b32_e32 v131, 0                                      // 000000002CD0: 7F060280
	v_mov_b32_e32 v68, 0                                       // 000000002CD4: 7E880280
	v_mov_b32_e32 v132, 0                                      // 000000002CD8: 7F080280
	v_mov_b32_e32 v69, 0                                       // 000000002CDC: 7E8A0280
	v_mov_b32_e32 v133, 0                                      // 000000002CE0: 7F0A0280
	v_mov_b32_e32 v70, 0                                       // 000000002CE4: 7E8C0280
	v_mov_b32_e32 v134, 0                                      // 000000002CE8: 7F0C0280
	v_mov_b32_e32 v71, 0                                       // 000000002CEC: 7E8E0280
	v_mov_b32_e32 v135, 0                                      // 000000002CF0: 7F0E0280
	v_mov_b32_e32 v72, 0                                       // 000000002CF4: 7E900280
	v_mov_b32_e32 v136, 0                                      // 000000002CF8: 7F100280
	v_mov_b32_e32 v73, 0                                       // 000000002CFC: 7E920280
	v_mov_b32_e32 v137, 0                                      // 000000002D00: 7F120280
	v_mov_b32_e32 v74, 0                                       // 000000002D04: 7E940280
	v_mov_b32_e32 v138, 0                                      // 000000002D08: 7F140280
	v_mov_b32_e32 v75, 0                                       // 000000002D0C: 7E960280
	v_mov_b32_e32 v139, 0                                      // 000000002D10: 7F160280
	v_mov_b32_e32 v76, 0                                       // 000000002D14: 7E980280
	v_mov_b32_e32 v140, 0                                      // 000000002D18: 7F180280
	v_mov_b32_e32 v77, 0                                       // 000000002D1C: 7E9A0280
	v_mov_b32_e32 v141, 0                                      // 000000002D20: 7F1A0280
	v_mov_b32_e32 v78, 0                                       // 000000002D24: 7E9C0280
	v_mov_b32_e32 v142, 0                                      // 000000002D28: 7F1C0280
	v_mov_b32_e32 v79, 0                                       // 000000002D2C: 7E9E0280
	v_mov_b32_e32 v143, 0                                      // 000000002D30: 7F1E0280
	v_mov_b32_e32 v80, 0                                       // 000000002D34: 7EA00280
	v_mov_b32_e32 v144, 0                                      // 000000002D38: 7F200280
	v_mov_b32_e32 v81, 0                                       // 000000002D3C: 7EA20280
	v_mov_b32_e32 v145, 0                                      // 000000002D40: 7F220280
	v_mov_b32_e32 v82, 0                                       // 000000002D44: 7EA40280
	v_mov_b32_e32 v146, 0                                      // 000000002D48: 7F240280
	v_mov_b32_e32 v83, 0                                       // 000000002D4C: 7EA60280
	v_mov_b32_e32 v147, 0                                      // 000000002D50: 7F260280
	v_mov_b32_e32 v84, 0                                       // 000000002D54: 7EA80280
	v_mov_b32_e32 v148, 0                                      // 000000002D58: 7F280280
	v_mov_b32_e32 v85, 0                                       // 000000002D5C: 7EAA0280
	v_mov_b32_e32 v149, 0                                      // 000000002D60: 7F2A0280
	v_mov_b32_e32 v86, 0                                       // 000000002D64: 7EAC0280
	v_mov_b32_e32 v150, 0                                      // 000000002D68: 7F2C0280
	v_mov_b32_e32 v87, 0                                       // 000000002D6C: 7EAE0280
	v_mov_b32_e32 v151, 0                                      // 000000002D70: 7F2E0280
	v_mov_b32_e32 v88, 0                                       // 000000002D74: 7EB00280
	v_mov_b32_e32 v152, 0                                      // 000000002D78: 7F300280
	v_mov_b32_e32 v89, 0                                       // 000000002D7C: 7EB20280
	v_mov_b32_e32 v153, 0                                      // 000000002D80: 7F320280
	v_mov_b32_e32 v90, 0                                       // 000000002D84: 7EB40280
	v_mov_b32_e32 v154, 0                                      // 000000002D88: 7F340280
	v_mov_b32_e32 v91, 0                                       // 000000002D8C: 7EB60280
	v_mov_b32_e32 v155, 0                                      // 000000002D90: 7F360280
	v_mov_b32_e32 v92, 0                                       // 000000002D94: 7EB80280
	v_mov_b32_e32 v156, 0                                      // 000000002D98: 7F380280
	v_mov_b32_e32 v93, 0                                       // 000000002D9C: 7EBA0280
	v_mov_b32_e32 v157, 0                                      // 000000002DA0: 7F3A0280
	v_mov_b32_e32 v94, 0                                       // 000000002DA4: 7EBC0280
	v_mov_b32_e32 v158, 0                                      // 000000002DA8: 7F3C0280
	v_mov_b32_e32 v95, 0                                       // 000000002DAC: 7EBE0280
	v_mov_b32_e32 v159, 0                                      // 000000002DB0: 7F3E0280
	v_mov_b32_e32 v96, 0                                       // 000000002DB4: 7EC00280
	v_mov_b32_e32 v160, 0                                      // 000000002DB8: 7F400280
	v_mov_b32_e32 v97, 0                                       // 000000002DBC: 7EC20280
	v_mov_b32_e32 v161, 0                                      // 000000002DC0: 7F420280
	v_mov_b32_e32 v98, 0                                       // 000000002DC4: 7EC40280
	v_mov_b32_e32 v162, 0                                      // 000000002DC8: 7F440280
	v_mov_b32_e32 v99, 0                                       // 000000002DCC: 7EC60280
	v_mov_b32_e32 v163, 0                                      // 000000002DD0: 7F460280
	v_mov_b32_e32 v100, 0                                      // 000000002DD4: 7EC80280
	v_mov_b32_e32 v164, 0                                      // 000000002DD8: 7F480280
	v_mov_b32_e32 v101, 0                                      // 000000002DDC: 7ECA0280
	v_mov_b32_e32 v165, 0                                      // 000000002DE0: 7F4A0280
	v_mov_b32_e32 v102, 0                                      // 000000002DE4: 7ECC0280
	v_mov_b32_e32 v166, 0                                      // 000000002DE8: 7F4C0280
	v_mov_b32_e32 v103, 0                                      // 000000002DEC: 7ECE0280
	v_mov_b32_e32 v167, 0                                      // 000000002DF0: 7F4E0280
	v_mov_b32_e32 v104, 0                                      // 000000002DF4: 7ED00280
	v_mov_b32_e32 v168, 0                                      // 000000002DF8: 7F500280
	v_mov_b32_e32 v105, 0                                      // 000000002DFC: 7ED20280
	v_mov_b32_e32 v169, 0                                      // 000000002E00: 7F520280
	v_mov_b32_e32 v106, 0                                      // 000000002E04: 7ED40280
	v_mov_b32_e32 v170, 0                                      // 000000002E08: 7F540280
	v_mov_b32_e32 v107, 0                                      // 000000002E0C: 7ED60280
	v_mov_b32_e32 v171, 0                                      // 000000002E10: 7F560280
	v_mov_b32_e32 v108, 0                                      // 000000002E14: 7ED80280
	v_mov_b32_e32 v172, 0                                      // 000000002E18: 7F580280
	v_mov_b32_e32 v109, 0                                      // 000000002E1C: 7EDA0280
	v_mov_b32_e32 v173, 0                                      // 000000002E20: 7F5A0280
	v_mov_b32_e32 v110, 0                                      // 000000002E24: 7EDC0280
	v_mov_b32_e32 v174, 0                                      // 000000002E28: 7F5C0280
	v_mov_b32_e32 v111, 0                                      // 000000002E2C: 7EDE0280
	v_mov_b32_e32 v175, 0                                      // 000000002E30: 7F5E0280
	v_mov_b32_e32 v112, 0                                      // 000000002E34: 7EE00280
	v_mov_b32_e32 v176, 0                                      // 000000002E38: 7F600280
	v_mov_b32_e32 v113, 0                                      // 000000002E3C: 7EE20280
	v_mov_b32_e32 v177, 0                                      // 000000002E40: 7F620280
	v_mov_b32_e32 v114, 0                                      // 000000002E44: 7EE40280
	v_mov_b32_e32 v178, 0                                      // 000000002E48: 7F640280
	v_mov_b32_e32 v115, 0                                      // 000000002E4C: 7EE60280
	v_mov_b32_e32 v179, 0                                      // 000000002E50: 7F660280
	v_mov_b32_e32 v116, 0                                      // 000000002E54: 7EE80280
	v_mov_b32_e32 v180, 0                                      // 000000002E58: 7F680280
	v_mov_b32_e32 v117, 0                                      // 000000002E5C: 7EEA0280
	v_mov_b32_e32 v181, 0                                      // 000000002E60: 7F6A0280
	v_mov_b32_e32 v118, 0                                      // 000000002E64: 7EEC0280
	v_mov_b32_e32 v182, 0                                      // 000000002E68: 7F6C0280
	v_mov_b32_e32 v119, 0                                      // 000000002E6C: 7EEE0280
	v_mov_b32_e32 v183, 0                                      // 000000002E70: 7F6E0280
	v_mov_b32_e32 v120, 0                                      // 000000002E74: 7EF00280
	v_mov_b32_e32 v184, 0                                      // 000000002E78: 7F700280
	v_mov_b32_e32 v121, 0                                      // 000000002E7C: 7EF20280
	v_mov_b32_e32 v185, 0                                      // 000000002E80: 7F720280
	v_mov_b32_e32 v122, 0                                      // 000000002E84: 7EF40280
	v_mov_b32_e32 v186, 0                                      // 000000002E88: 7F740280
	v_mov_b32_e32 v123, 0                                      // 000000002E8C: 7EF60280
	v_mov_b32_e32 v187, 0                                      // 000000002E90: 7F760280
	s_mul_i32 s60, s2, 0x200                                   // 000000002E94: 923CFF02 00000200
	s_cmp_eq_u32 s88, 0                                        // 000000002E9C: BF068058
	s_cselect_b32 s61, 1, 2                                    // 000000002EA0: 853D8281
	s_mul_i32 s60, s60, s61                                    // 000000002EA4: 923C3D3C
	s_mov_b32 s90, s8                                          // 000000002EA8: BEDA0008
	s_mov_b32 s91, s9                                          // 000000002EAC: BEDB0009
	s_add_u32 s8, s60, s8                                      // 000000002EB0: 8008083C
	s_addc_u32 s9, 0, s9                                       // 000000002EB4: 82090980
	v_lshrrev_b32_e32 v4, 4, v0                                // 000000002EB8: 20080084
	v_mul_lo_u32 v20, 34, v4                                   // 000000002EBC: D2850014 000208A2
	v_and_b32_e32 v4, 15, v0                                   // 000000002EC4: 2608008F
	v_mul_lo_u32 v5, 2, v4                                     // 000000002EC8: D2850005 00020882
	v_add_u32_e32 v20, v5, v20                                 // 000000002ED0: 68282905
	s_mul_i32 s60, s7, 0x88                                    // 000000002ED4: 923CFF07 00000088
	v_add_u32_e32 v20, s60, v20                                // 000000002EDC: 6828283C
	v_lshlrev_b32_e32 v20, 2, v20                              // 000000002EE0: 24282882
	v_and_b32_e32 v4, 31, v0                                   // 000000002EE4: 2608009F
	v_lshrrev_b32_e32 v4, 1, v4                                // 000000002EE8: 20080881
	v_mul_lo_u32 v21, 34, v4                                   // 000000002EEC: D2850015 000208A2
	v_lshrrev_b32_e32 v4, 5, v0                                // 000000002EF4: 20080085
	v_mul_lo_u32 v4, 8, v4                                     // 000000002EF8: D2850004 00020888
	v_add_u32_e32 v21, v21, v4                                 // 000000002F00: 682A0915
	v_and_b32_e32 v5, 1, v0                                    // 000000002F04: 260A0081
	v_add_u32_e32 v21, v5, v21                                 // 000000002F08: 682A2B05
	s_mul_i32 s60, s7, 2                                       // 000000002F0C: 923C8207
	v_add_u32_e32 v21, s60, v21                                // 000000002F10: 682A2A3C
	v_lshlrev_b32_e32 v21, 2, v21                              // 000000002F14: 242A2A82
	s_mul_i32 s60, s7, 0x820                                   // 000000002F18: 923CFF07 00000820
	s_add_u32 s48, 0, s60                                      // 000000002F20: 80303C80
	s_add_u32 s49, 0x2080, s48                                 // 000000002F24: 803130FF 00002080
	s_add_u32 s50, 0x2080, s49                                 // 000000002F2C: 803231FF 00002080
	v_lshrrev_b32_e32 v4, 4, v0                                // 000000002F34: 20080084
	v_lshlrev_b32_e32 v5, 2, v4                                // 000000002F38: 240A0882
	v_and_b32_e32 v4, 15, v0                                   // 000000002F3C: 2608008F
	v_lshrrev_b32_e32 v6, 2, v4                                // 000000002F40: 200C0882
	v_lshlrev_b32_e32 v6, 5, v6                                // 000000002F44: 240C0C85
	v_add_u32_e32 v5, v6, v5                                   // 000000002F48: 680A0B06
	v_and_b32_e32 v4, 3, v0                                    // 000000002F4C: 26080083
	v_mul_u32_u24_e32 v6, 0x208, v4                            // 000000002F50: 100C08FF 00000208
	v_add_u32_e32 v5, v6, v5                                   // 000000002F58: 680A0B06
	v_lshlrev_b32_e32 v2, 2, v5                                // 000000002F5C: 24040A82
	s_waitcnt lgkmcnt(0)                                       // 000000002F60: BF8CC07F
	s_mul_i32 s60, s2, 0x100                                   // 000000002F64: 923CFF02 00000100
	s_mul_i32 s60, s60, s69                                    // 000000002F6C: 923C453C
	s_mul_i32 s61, s5, s72                                     // 000000002F70: 923D4805
	s_add_u32 s60, s61, s60                                    // 000000002F74: 803C3C3D
	s_add_u32 s24, s60, s24                                    // 000000002F78: 8018183C
	s_addc_u32 s25, 0, s25                                     // 000000002F7C: 82191980
	s_lshr_b32 s60, s64, s88                                   // 000000002F80: 8F3C5840
	s_mul_i32 s60, s4, s60                                     // 000000002F84: 923C3C04
	s_lshr_b32 s60, s60, 7                                     // 000000002F88: 8F3C873C
	s_mul_i32 s60, s60, 0x800                                  // 000000002F8C: 923CFF3C 00000800
	s_add_u32 s24, s60, s24                                    // 000000002F94: 8018183C
	s_addc_u32 s25, 0, s25                                     // 000000002F98: 82191980
	s_lshr_b32 s60, s69, s88                                   // 000000002F9C: 8F3C5845
	s_mul_i32 s60, s4, s60                                     // 000000002FA0: 923C3C04
	s_add_u32 s20, s60, s20                                    // 000000002FA4: 8014143C
	s_addc_u32 s21, 0, s21                                     // 000000002FA8: 82151580
	s_mul_i32 s60, s7, 16                                      // 000000002FAC: 923C9007
	s_mul_i32 s60, s60, s69                                    // 000000002FB0: 923C453C
	v_lshlrev_b32_e32 v54, 4, v0                               // 000000002FB4: 246C0084
	v_add_u32_e32 v54, s60, v54                                // 000000002FB8: 686C6C3C
	s_mul_i32 s60, 64, s69                                     // 000000002FBC: 923C45C0
	v_add_u32_e32 v55, s60, v54                                // 000000002FC0: 686E6C3C
	v_add_u32_e32 v56, s60, v55                                // 000000002FC4: 68706E3C
	v_add_u32_e32 v57, s60, v56                                // 000000002FC8: 6872703C
	s_mov_b32 s84, s24                                         // 000000002FCC: BED40018
	s_mov_b32 s85, s25                                         // 000000002FD0: BED50019
	s_mov_b32 s86, s26                                         // 000000002FD4: BED6001A
	s_mov_b32 s87, s27                                         // 000000002FD8: BED7001B
	s_mul_i32 s60, s69, s65                                    // 000000002FDC: 923C4145
	s_add_u32 s84, s60, s84                                    // 000000002FE0: 8054543C
	s_addc_u32 s85, 0, s85                                     // 000000002FE4: 82555580
	v_lshrrev_b32_e32 v4, 4, v0                                // 000000002FE8: 20080084
	v_lshlrev_b32_e32 v5, 2, v4                                // 000000002FEC: 240A0882
	v_and_b32_e32 v4, 15, v0                                   // 000000002FF0: 2608008F
	v_lshrrev_b32_e32 v6, 2, v4                                // 000000002FF4: 200C0882
	v_lshlrev_b32_e32 v6, 6, v6                                // 000000002FF8: 240C0C86
	v_add_u32_e32 v5, v6, v5                                   // 000000002FFC: 680A0B06
	v_and_b32_e32 v4, 3, v0                                    // 000000003000: 26080083
	v_add_u32_e32 v5, v4, v5                                   // 000000003004: 680A0B04
	v_lshlrev_b32_e32 v22, 2, v5                               // 000000003008: 242C0A82
	s_mul_i32 s60, s7, 16                                      // 00000000300C: 923C9007
	s_mul_i32 s60, s60, 4                                      // 000000003010: 923C843C
	v_add_u32_e32 v22, s60, v22                                // 000000003014: 682C2C3C
	s_mul_i32 s60, s2, 0x100                                   // 000000003018: 923CFF02 00000100
	s_mul_i32 s60, s60, 4                                      // 000000003020: 923C843C
	s_mul_i32 s61, s5, s74                                     // 000000003024: 923D4A05
	s_add_u32 s61, s61, s60                                    // 000000003028: 803D3C3D
	s_add_u32 s32, s61, s32                                    // 00000000302C: 8020203D
	s_addc_u32 s33, 0, s33                                     // 000000003030: 82212180
	s_mov_b32 s57, 0x80                                        // 000000003034: BEB900FF 00000080
	s_mov_b32 s58, 0x800                                       // 00000000303C: BEBA00FF 00000800
	s_mov_b32 s83, s58                                         // 000000003044: BED3003A
	s_mov_b32 s52, 0x7060302                                   // 000000003048: BEB400FF 07060302
	s_mov_b32 s53, 0x400                                       // 000000003050: BEB500FF 00000400
	s_mov_b32 s54, 0x40100                                     // 000000003058: BEB600FF 00040100
	s_mov_b32 s55, 0x4020100                                   // 000000003060: BEB700FF 04020100
	s_mov_b32 s6, 0x3fb8aa3b                                   // 000000003068: BE8600FF 3FB8AA3B
	s_mov_b32 s78, 0xbd92220c                                  // 000000003070: BECE00FF BD92220C
	s_mov_b32 s79, 0xbd92220c                                  // 000000003078: BECF00FF BD92220C
	s_mov_b32 m0, s48                                          // 000000003080: BEFC0030
	v_mov_b32_e32 v1, 0xbfcc4231                               // 000000003084: 7E0202FF BFCC4231
	v_mov_b32_e32 v17, 0xffff0000                              // 00000000308C: 7E2202FF FFFF0000
	v_mov_b32_e32 v18, 0x7fff0000                              // 000000003094: 7E2402FF 7FFF0000
	v_mov_b32_e32 v19, 0x7fff                                  // 00000000309C: 7E2602FF 00007FFF
	s_waitcnt vmcnt(0) expcnt(0) lgkmcnt(0)                    // 0000000030A4: BF8C0000
	s_mul_i32 s60, s3, 64                                      // 0000000030A8: 923CC003
	s_mul_i32 s60, 4, s60                                      // 0000000030AC: 923C3C84
	s_add_u32 s40, s60, s40                                    // 0000000030B0: 8028283C
	s_addc_u32 s41, 0, s41                                     // 0000000030B4: 82292980
	v_and_b32_e32 v4, 15, v0                                   // 0000000030B8: 2608008F
	v_lshlrev_b32_e32 v4, 2, v4                                // 0000000030BC: 24080882
	buffer_load_dword v188, v4, s[40:43], 0 offen              // 0000000030C0: E0501000 800ABC04
	buffer_load_dword v189, v4, s[40:43], 0 offen offset:64    // 0000000030C8: E0501040 800ABD04
	buffer_load_dword v190, v4, s[40:43], 0 offen offset:128   // 0000000030D0: E0501080 800ABE04
	buffer_load_dword v191, v4, s[40:43], 0 offen offset:192   // 0000000030D8: E05010C0 800ABF04
	v_lshrrev_b32_e32 v4, 5, v0                                // 0000000030E0: 20080085
	v_xor_b32_e32 v5, 1, v4                                    // 0000000030E4: 2A0A0881
	v_readlane_b32 s82, v3, 0                                  // 0000000030E8: D2890052 00010103
	s_and_b32 s82, s82, 0xffffff                               // 0000000030F0: 8652FF52 00FFFFFF
	v_mul_lo_u32 v6, v5, s82                                   // 0000000030F8: D2850006 0000A505
	v_readlane_b32 s82, v3, 1                                  // 000000003100: D2890052 00010303
	s_and_b32 s82, s82, 0xffffff                               // 000000003108: 8652FF52 00FFFFFF
	v_mul_lo_u32 v7, v4, s82                                   // 000000003110: D2850007 0000A504
	v_add_u32_e32 v46, v6, v7                                  // 000000003118: 685C0F06
	v_mul_lo_u32 v46, v46, s68                                 // 00000000311C: D285002E 0000892E
	v_readlane_b32 s82, v3, 2                                  // 000000003124: D2890052 00010503
	s_and_b32 s82, s82, 0xffffff                               // 00000000312C: 8652FF52 00FFFFFF
	v_mul_lo_u32 v6, v5, s82                                   // 000000003134: D2850006 0000A505
	v_readlane_b32 s82, v3, 3                                  // 00000000313C: D2890052 00010703
	s_and_b32 s82, s82, 0xffffff                               // 000000003144: 8652FF52 00FFFFFF
	v_mul_lo_u32 v7, v4, s82                                   // 00000000314C: D2850007 0000A504
	v_add_u32_e32 v47, v6, v7                                  // 000000003154: 685E0F06
	v_mul_lo_u32 v47, v47, s68                                 // 000000003158: D285002F 0000892F
	v_readlane_b32 s82, v3, 4                                  // 000000003160: D2890052 00010903
	s_and_b32 s82, s82, 0xffffff                               // 000000003168: 8652FF52 00FFFFFF
	v_mul_lo_u32 v6, v5, s82                                   // 000000003170: D2850006 0000A505
	v_readlane_b32 s82, v3, 5                                  // 000000003178: D2890052 00010B03
	s_and_b32 s82, s82, 0xffffff                               // 000000003180: 8652FF52 00FFFFFF
	v_mul_lo_u32 v7, v4, s82                                   // 000000003188: D2850007 0000A504
	v_add_u32_e32 v48, v6, v7                                  // 000000003190: 68600F06
	v_mul_lo_u32 v48, v48, s68                                 // 000000003194: D2850030 00008930
	v_readlane_b32 s82, v3, 6                                  // 00000000319C: D2890052 00010D03
	s_and_b32 s82, s82, 0xffffff                               // 0000000031A4: 8652FF52 00FFFFFF
	v_mul_lo_u32 v6, v5, s82                                   // 0000000031AC: D2850006 0000A505
	v_readlane_b32 s82, v3, 7                                  // 0000000031B4: D2890052 00010F03
	s_and_b32 s82, s82, 0xffffff                               // 0000000031BC: 8652FF52 00FFFFFF
	v_mul_lo_u32 v7, v4, s82                                   // 0000000031C4: D2850007 0000A504
	v_add_u32_e32 v49, v6, v7                                  // 0000000031CC: 68620F06
	v_mul_lo_u32 v49, v49, s68                                 // 0000000031D0: D2850031 00008931
	v_readlane_b32 s82, v3, 8                                  // 0000000031D8: D2890052 00011103
	s_and_b32 s82, s82, 0xffffff                               // 0000000031E0: 8652FF52 00FFFFFF
	v_mul_lo_u32 v6, v5, s82                                   // 0000000031E8: D2850006 0000A505
	v_readlane_b32 s82, v3, 9                                  // 0000000031F0: D2890052 00011303
	s_and_b32 s82, s82, 0xffffff                               // 0000000031F8: 8652FF52 00FFFFFF
	v_mul_lo_u32 v7, v4, s82                                   // 000000003200: D2850007 0000A504
	v_add_u32_e32 v50, v6, v7                                  // 000000003208: 68640F06
	v_mul_lo_u32 v50, v50, s68                                 // 00000000320C: D2850032 00008932
	v_readlane_b32 s82, v3, 10                                 // 000000003214: D2890052 00011503
	s_and_b32 s82, s82, 0xffffff                               // 00000000321C: 8652FF52 00FFFFFF
	v_mul_lo_u32 v6, v5, s82                                   // 000000003224: D2850006 0000A505
	v_readlane_b32 s82, v3, 11                                 // 00000000322C: D2890052 00011703
	s_and_b32 s82, s82, 0xffffff                               // 000000003234: 8652FF52 00FFFFFF
	v_mul_lo_u32 v7, v4, s82                                   // 00000000323C: D2850007 0000A504
	v_add_u32_e32 v51, v6, v7                                  // 000000003244: 68660F06
	v_mul_lo_u32 v51, v51, s68                                 // 000000003248: D2850033 00008933
	v_readlane_b32 s82, v3, 12                                 // 000000003250: D2890052 00011903
	s_and_b32 s82, s82, 0xffffff                               // 000000003258: 8652FF52 00FFFFFF
	v_mul_lo_u32 v6, v5, s82                                   // 000000003260: D2850006 0000A505
	v_readlane_b32 s82, v3, 13                                 // 000000003268: D2890052 00011B03
	s_and_b32 s82, s82, 0xffffff                               // 000000003270: 8652FF52 00FFFFFF
	v_mul_lo_u32 v7, v4, s82                                   // 000000003278: D2850007 0000A504
	v_add_u32_e32 v52, v6, v7                                  // 000000003280: 68680F06
	v_mul_lo_u32 v52, v52, s68                                 // 000000003284: D2850034 00008934
	v_readlane_b32 s82, v3, 14                                 // 00000000328C: D2890052 00011D03
	s_and_b32 s82, s82, 0xffffff                               // 000000003294: 8652FF52 00FFFFFF
	v_mul_lo_u32 v6, v5, s82                                   // 00000000329C: D2850006 0000A505
	v_readlane_b32 s82, v3, 15                                 // 0000000032A4: D2890052 00011F03
	s_and_b32 s82, s82, 0xffffff                               // 0000000032AC: 8652FF52 00FFFFFF
	v_mul_lo_u32 v7, v4, s82                                   // 0000000032B4: D2850007 0000A504
	v_add_u32_e32 v53, v6, v7                                  // 0000000032BC: 686A0F06
	v_mul_lo_u32 v53, v53, s68                                 // 0000000032C0: D2850035 00008935
	v_and_b32_e32 v4, 31, v0                                   // 0000000032C8: 2608009F
	v_lshlrev_b32_e32 v4, 2, v4                                // 0000000032CC: 24080882
	v_add_u32_e32 v46, v46, v4                                 // 0000000032D0: 685C092E
	v_add_u32_e32 v47, v47, v4                                 // 0000000032D4: 685E092F
	v_add_u32_e32 v48, v48, v4                                 // 0000000032D8: 68600930
	v_add_u32_e32 v49, v49, v4                                 // 0000000032DC: 68620931
	v_add_u32_e32 v50, v50, v4                                 // 0000000032E0: 68640932
	v_add_u32_e32 v51, v51, v4                                 // 0000000032E4: 68660933
	v_add_u32_e32 v52, v52, v4                                 // 0000000032E8: 68680934
	v_add_u32_e32 v53, v53, v4                                 // 0000000032EC: 686A0935
	v_and_b32_e32 v30, 0xffffff, v30                           // 0000000032F0: 263C3CFF 00FFFFFF
	v_lshlrev_b32_e32 v30, 2, v30                              // 0000000032F8: 243C3C82
	v_and_b32_e32 v31, 0xffffff, v31                           // 0000000032FC: 263E3EFF 00FFFFFF
	v_lshlrev_b32_e32 v31, 2, v31                              // 000000003304: 243E3E82
	v_and_b32_e32 v32, 0xffffff, v32                           // 000000003308: 264040FF 00FFFFFF
	v_lshlrev_b32_e32 v32, 2, v32                              // 000000003310: 24404082
	v_and_b32_e32 v33, 0xffffff, v33                           // 000000003314: 264242FF 00FFFFFF
	v_lshlrev_b32_e32 v33, 2, v33                              // 00000000331C: 24424282
	s_lshl_b32 s3, s66, 2                                      // 000000003320: 8E038242
	buffer_load_dword v34, v30, s[28:31], 0 offen              // 000000003324: E0501000 8007221E
	buffer_load_dword v35, v31, s[28:31], 0 offen              // 00000000332C: E0501000 8007231F
	buffer_load_dword v36, v32, s[28:31], 0 offen              // 000000003334: E0501000 80072420
	buffer_load_dword v37, v33, s[28:31], 0 offen              // 00000000333C: E0501000 80072521
	buffer_load_dword v24, v22, s[32:35], 0 offen              // 000000003344: E0501000 80081816
	s_mul_i32 s60, 4, s65                                      // 00000000334C: 923C4184
	s_add_u32 s32, s60, s32                                    // 000000003350: 8020203C
	s_addc_u32 s33, 0, s33                                     // 000000003354: 82212180
	buffer_load_dword v27, v22, s[32:35], 0 offen              // 000000003358: E0501000 80081B16
	buffer_load_dword v46, s[20:23], 0 offen lds               // 000000003360: E0511000 8005002E
	s_add_u32 m0, 0x100, s48                                   // 000000003368: 807C30FF 00000100
	buffer_load_dword v47, s[20:23], 0 offen lds               // 000000003370: E0511000 8005002F
	s_add_u32 m0, 0x200, s48                                   // 000000003378: 807C30FF 00000200
	buffer_load_dword v48, s[20:23], 0 offen lds               // 000000003380: E0511000 80050030
	s_add_u32 m0, 0x300, s48                                   // 000000003388: 807C30FF 00000300
	buffer_load_dword v49, s[20:23], 0 offen lds               // 000000003390: E0511000 80050031
	s_add_u32 m0, 0x400, s48                                   // 000000003398: 807C30FF 00000400
	buffer_load_dword v50, s[20:23], 0 offen lds               // 0000000033A0: E0511000 80050032
	s_add_u32 m0, 0x500, s48                                   // 0000000033A8: 807C30FF 00000500
	buffer_load_dword v51, s[20:23], 0 offen lds               // 0000000033B0: E0511000 80050033
	s_add_u32 m0, 0x600, s48                                   // 0000000033B8: 807C30FF 00000600
	buffer_load_dword v52, s[20:23], 0 offen lds               // 0000000033C0: E0511000 80050034
	s_add_u32 m0, 0x700, s48                                   // 0000000033C8: 807C30FF 00000700
	buffer_load_dword v53, s[20:23], 0 offen lds               // 0000000033D0: E0511000 80050035
	s_add_u32 m0, 0, s49                                       // 0000000033D8: 807C3180
	s_add_u32 s20, s57, s20                                    // 0000000033DC: 80141439
	s_addc_u32 s21, 0, s21                                     // 0000000033E0: 82151580
	buffer_load_dwordx4 a[64:67], v54, s[24:27], 0 offen       // 0000000033E4: E05C1000 80864036
	buffer_load_dwordx4 a[68:71], v54, s[24:27], 0 offen offset:1024// 0000000033EC: E05C1400 80864436
	buffer_load_dwordx4 a[72:75], v55, s[24:27], 0 offen       // 0000000033F4: E05C1000 80864837
	buffer_load_dwordx4 a[76:79], v55, s[24:27], 0 offen offset:1024// 0000000033FC: E05C1400 80864C37
	buffer_load_dwordx4 a[80:83], v56, s[24:27], 0 offen       // 000000003404: E05C1000 80865038
	buffer_load_dwordx4 a[84:87], v56, s[24:27], 0 offen offset:1024// 00000000340C: E05C1400 80865438
	buffer_load_dwordx4 a[88:91], v57, s[24:27], 0 offen       // 000000003414: E05C1000 80865839
	buffer_load_dwordx4 a[92:95], v57, s[24:27], 0 offen offset:1024// 00000000341C: E05C1400 80865C39
	s_add_u32 s24, s58, s24                                    // 000000003424: 8018183A
	s_addc_u32 s25, 0, s25                                     // 000000003428: 82191980
	buffer_load_dword v46, s[20:23], 0 offen lds               // 00000000342C: E0511000 8005002E
	s_add_u32 m0, 0x100, s49                                   // 000000003434: 807C31FF 00000100
	buffer_load_dword v47, s[20:23], 0 offen lds               // 00000000343C: E0511000 8005002F
	s_add_u32 m0, 0x200, s49                                   // 000000003444: 807C31FF 00000200
	buffer_load_dword v48, s[20:23], 0 offen lds               // 00000000344C: E0511000 80050030
	s_add_u32 m0, 0x300, s49                                   // 000000003454: 807C31FF 00000300
	buffer_load_dword v49, s[20:23], 0 offen lds               // 00000000345C: E0511000 80050031
	s_add_u32 m0, 0x400, s49                                   // 000000003464: 807C31FF 00000400
	buffer_load_dword v50, s[20:23], 0 offen lds               // 00000000346C: E0511000 80050032
	s_add_u32 m0, 0x500, s49                                   // 000000003474: 807C31FF 00000500
	buffer_load_dword v51, s[20:23], 0 offen lds               // 00000000347C: E0511000 80050033
	s_add_u32 m0, 0x600, s49                                   // 000000003484: 807C31FF 00000600
	buffer_load_dword v52, s[20:23], 0 offen lds               // 00000000348C: E0511000 80050034
	s_add_u32 m0, 0x700, s49                                   // 000000003494: 807C31FF 00000700
	buffer_load_dword v53, s[20:23], 0 offen lds               // 00000000349C: E0511000 80050035
	s_add_u32 m0, 0, s50                                       // 0000000034A4: 807C3280
	s_add_u32 s20, s57, s20                                    // 0000000034A8: 80141439
	s_addc_u32 s21, 0, s21                                     // 0000000034AC: 82151580
	buffer_load_dwordx4 a[96:99], v54, s[84:87], 0 offen       // 0000000034B0: E05C1000 80956036
	buffer_load_dwordx4 a[100:103], v54, s[84:87], 0 offen offset:1024// 0000000034B8: E05C1400 80956436
	buffer_load_dwordx4 a[104:107], v55, s[84:87], 0 offen     // 0000000034C0: E05C1000 80956837
	buffer_load_dwordx4 a[108:111], v55, s[84:87], 0 offen offset:1024// 0000000034C8: E05C1400 80956C37
	buffer_load_dwordx4 a[112:115], v56, s[84:87], 0 offen     // 0000000034D0: E05C1000 80957038
	buffer_load_dwordx4 a[116:119], v56, s[84:87], 0 offen offset:1024// 0000000034D8: E05C1400 80957438
	buffer_load_dwordx4 a[120:123], v57, s[84:87], 0 offen     // 0000000034E0: E05C1000 80957839
	buffer_load_dwordx4 a[124:127], v57, s[84:87], 0 offen offset:1024// 0000000034E8: E05C1400 80957C39
	s_add_u32 s84, s83, s84                                    // 0000000034F0: 80545453
	s_addc_u32 s85, 0, s85                                     // 0000000034F4: 82555580
	s_waitcnt vmcnt(24)                                        // 0000000034F8: BF8C4F78
	s_barrier                                                  // 0000000034FC: BF8A0000
	ds_read_b128 a[0:3], v2                                    // 000000003500: DBFE0000 00000002
	ds_read_b128 a[4:7], v2 offset:64                          // 000000003508: DBFE0040 04000002
	ds_read_b128 a[8:11], v2 offset:512                        // 000000003510: DBFE0200 08000002
	ds_read_b128 a[12:15], v2 offset:576                       // 000000003518: DBFE0240 0C000002
	ds_read_b128 a[16:19], v2 offset:1024                      // 000000003520: DBFE0400 10000002
	ds_read_b128 a[20:23], v2 offset:1088                      // 000000003528: DBFE0440 14000002
	ds_read_b128 a[24:27], v2 offset:1536                      // 000000003530: DBFE0600 18000002
	ds_read_b128 a[28:31], v2 offset:1600                      // 000000003538: DBFE0640 1C000002
	s_cmp_lt_i32 s7, 2                                         // 000000003540: BF048207
	s_cbranch_scc0 label_1A59                                  // 000000003544: BF841784

0000000000003548 <label_02D2>:
	s_waitcnt vmcnt(16) lgkmcnt(0)                             // 000000003548: BF8C4070
	v_mfma_f32_16x16x32_fp8_fp8 v[60:63], a[64:65], a[0:1], v[60:63]// 00000000354C: D3F3003C 1CF20140
	v_mfma_f32_16x16x32_fp8_fp8 v[60:63], a[66:67], a[2:3], v[60:63]// 000000003554: D3F3003C 1CF20542
	buffer_load_dwordx4 a[128:131], v54, s[24:27], 0 offen     // 00000000355C: E05C1000 80868036
	v_mfma_f32_16x16x32_fp8_fp8 v[60:63], a[68:69], a[4:5], v[60:63]// 000000003564: D3F3003C 1CF20944
	v_mfma_f32_16x16x32_fp8_fp8 v[60:63], a[70:71], a[6:7], v[60:63]// 00000000356C: D3F3003C 1CF20D46
	v_mfma_f32_16x16x32_fp8_fp8 v[76:79], a[72:73], a[0:1], v[76:79]// 000000003574: D3F3004C 1D320148
	v_mfma_f32_16x16x32_fp8_fp8 v[76:79], a[74:75], a[2:3], v[76:79]// 00000000357C: D3F3004C 1D32054A
	buffer_load_dwordx4 a[132:135], v54, s[24:27], 0 offen offset:1024// 000000003584: E05C1400 80868436
	v_mfma_f32_16x16x32_fp8_fp8 v[76:79], a[76:77], a[4:5], v[76:79]// 00000000358C: D3F3004C 1D32094C
	v_mfma_f32_16x16x32_fp8_fp8 v[76:79], a[78:79], a[6:7], v[76:79]// 000000003594: D3F3004C 1D320D4E
	v_mfma_f32_16x16x32_fp8_fp8 v[92:95], a[80:81], a[0:1], v[92:95]// 00000000359C: D3F3005C 1D720150
	v_mfma_f32_16x16x32_fp8_fp8 v[92:95], a[82:83], a[2:3], v[92:95]// 0000000035A4: D3F3005C 1D720552
	buffer_load_dwordx4 a[136:139], v55, s[24:27], 0 offen     // 0000000035AC: E05C1000 80868837
	v_mfma_f32_16x16x32_fp8_fp8 v[92:95], a[84:85], a[4:5], v[92:95]// 0000000035B4: D3F3005C 1D720954
	v_mfma_f32_16x16x32_fp8_fp8 v[92:95], a[86:87], a[6:7], v[92:95]// 0000000035BC: D3F3005C 1D720D56
	v_mfma_f32_16x16x32_fp8_fp8 v[108:111], a[88:89], a[0:1], v[108:111]// 0000000035C4: D3F3006C 1DB20158
	v_mfma_f32_16x16x32_fp8_fp8 v[108:111], a[90:91], a[2:3], v[108:111]// 0000000035CC: D3F3006C 1DB2055A
	buffer_load_dwordx4 a[140:143], v55, s[24:27], 0 offen offset:1024// 0000000035D4: E05C1400 80868C37
	v_mfma_f32_16x16x32_fp8_fp8 v[108:111], a[92:93], a[4:5], v[108:111]// 0000000035DC: D3F3006C 1DB2095C
	v_mfma_f32_16x16x32_fp8_fp8 v[108:111], a[94:95], a[6:7], v[108:111]// 0000000035E4: D3F3006C 1DB20D5E
	v_mfma_f32_16x16x32_fp8_fp8 v[64:67], a[64:65], a[8:9], v[64:67]// 0000000035EC: D3F30040 1D021140
	v_mfma_f32_16x16x32_fp8_fp8 v[64:67], a[66:67], a[10:11], v[64:67]// 0000000035F4: D3F30040 1D021542
	buffer_load_dwordx4 a[144:147], v56, s[24:27], 0 offen     // 0000000035FC: E05C1000 80869038
	v_mfma_f32_16x16x32_fp8_fp8 v[64:67], a[68:69], a[12:13], v[64:67]// 000000003604: D3F30040 1D021944
	v_mfma_f32_16x16x32_fp8_fp8 v[64:67], a[70:71], a[14:15], v[64:67]// 00000000360C: D3F30040 1D021D46
	v_mfma_f32_16x16x32_fp8_fp8 v[80:83], a[72:73], a[8:9], v[80:83]// 000000003614: D3F30050 1D421148
	v_mfma_f32_16x16x32_fp8_fp8 v[80:83], a[74:75], a[10:11], v[80:83]// 00000000361C: D3F30050 1D42154A
	buffer_load_dwordx4 a[148:151], v56, s[24:27], 0 offen offset:1024// 000000003624: E05C1400 80869438
	v_mfma_f32_16x16x32_fp8_fp8 v[80:83], a[76:77], a[12:13], v[80:83]// 00000000362C: D3F30050 1D42194C
	v_mfma_f32_16x16x32_fp8_fp8 v[80:83], a[78:79], a[14:15], v[80:83]// 000000003634: D3F30050 1D421D4E
	v_mfma_f32_16x16x32_fp8_fp8 v[96:99], a[80:81], a[8:9], v[96:99]// 00000000363C: D3F30060 1D821150
	v_mfma_f32_16x16x32_fp8_fp8 v[96:99], a[82:83], a[10:11], v[96:99]// 000000003644: D3F30060 1D821552
	buffer_load_dwordx4 a[152:155], v57, s[24:27], 0 offen     // 00000000364C: E05C1000 80869839
	v_mfma_f32_16x16x32_fp8_fp8 v[96:99], a[84:85], a[12:13], v[96:99]// 000000003654: D3F30060 1D821954
	v_mfma_f32_16x16x32_fp8_fp8 v[96:99], a[86:87], a[14:15], v[96:99]// 00000000365C: D3F30060 1D821D56
	v_mfma_f32_16x16x32_fp8_fp8 v[112:115], a[88:89], a[8:9], v[112:115]// 000000003664: D3F30070 1DC21158
	v_mfma_f32_16x16x32_fp8_fp8 v[112:115], a[90:91], a[10:11], v[112:115]// 00000000366C: D3F30070 1DC2155A
	buffer_load_dwordx4 a[156:159], v57, s[24:27], 0 offen offset:1024// 000000003674: E05C1400 80869C39
	buffer_load_dword v46, s[20:23], 0 offen lds               // 00000000367C: E0511000 8005002E
	s_add_u32 m0, 0x100, s50                                   // 000000003684: 807C32FF 00000100
	v_mfma_f32_16x16x32_fp8_fp8 v[112:115], a[92:93], a[12:13], v[112:115]// 00000000368C: D3F30070 1DC2195C
	v_mfma_f32_16x16x32_fp8_fp8 v[112:115], a[94:95], a[14:15], v[112:115]// 000000003694: D3F30070 1DC21D5E
	buffer_load_dword v47, s[20:23], 0 offen lds               // 00000000369C: E0511000 8005002F
	s_add_u32 m0, 0x200, s50                                   // 0000000036A4: 807C32FF 00000200
	v_mfma_f32_16x16x32_fp8_fp8 v[68:71], a[64:65], a[16:17], v[68:71]// 0000000036AC: D3F30044 1D122140
	v_mfma_f32_16x16x32_fp8_fp8 v[68:71], a[66:67], a[18:19], v[68:71]// 0000000036B4: D3F30044 1D122542
	buffer_load_dword v48, s[20:23], 0 offen lds               // 0000000036BC: E0511000 80050030
	s_add_u32 m0, 0x300, s50                                   // 0000000036C4: 807C32FF 00000300
	v_mfma_f32_16x16x32_fp8_fp8 v[68:71], a[68:69], a[20:21], v[68:71]// 0000000036CC: D3F30044 1D122944
	v_mfma_f32_16x16x32_fp8_fp8 v[68:71], a[70:71], a[22:23], v[68:71]// 0000000036D4: D3F30044 1D122D46
	buffer_load_dword v49, s[20:23], 0 offen lds               // 0000000036DC: E0511000 80050031
	s_add_u32 m0, 0x400, s50                                   // 0000000036E4: 807C32FF 00000400
	v_mfma_f32_16x16x32_fp8_fp8 v[84:87], a[72:73], a[16:17], v[84:87]// 0000000036EC: D3F30054 1D522148
	v_mfma_f32_16x16x32_fp8_fp8 v[84:87], a[74:75], a[18:19], v[84:87]// 0000000036F4: D3F30054 1D52254A
	buffer_load_dword v50, s[20:23], 0 offen lds               // 0000000036FC: E0511000 80050032
	s_add_u32 m0, 0x500, s50                                   // 000000003704: 807C32FF 00000500
	v_mfma_f32_16x16x32_fp8_fp8 v[84:87], a[76:77], a[20:21], v[84:87]// 00000000370C: D3F30054 1D52294C
	v_mfma_f32_16x16x32_fp8_fp8 v[84:87], a[78:79], a[22:23], v[84:87]// 000000003714: D3F30054 1D522D4E
	buffer_load_dword v51, s[20:23], 0 offen lds               // 00000000371C: E0511000 80050033
	s_add_u32 m0, 0x600, s50                                   // 000000003724: 807C32FF 00000600
	v_mfma_f32_16x16x32_fp8_fp8 v[100:103], a[80:81], a[16:17], v[100:103]// 00000000372C: D3F30064 1D922150
	v_mfma_f32_16x16x32_fp8_fp8 v[100:103], a[82:83], a[18:19], v[100:103]// 000000003734: D3F30064 1D922552
	buffer_load_dword v52, s[20:23], 0 offen lds               // 00000000373C: E0511000 80050034
	s_add_u32 m0, 0x700, s50                                   // 000000003744: 807C32FF 00000700
	v_mfma_f32_16x16x32_fp8_fp8 v[100:103], a[84:85], a[20:21], v[100:103]// 00000000374C: D3F30064 1D922954
	v_mfma_f32_16x16x32_fp8_fp8 v[100:103], a[86:87], a[22:23], v[100:103]// 000000003754: D3F30064 1D922D56
	buffer_load_dword v53, s[20:23], 0 offen lds               // 00000000375C: E0511000 80050035
	s_add_u32 m0, 0, s48                                       // 000000003764: 807C3080
	v_mfma_f32_16x16x32_fp8_fp8 v[116:119], a[88:89], a[16:17], v[116:119]// 000000003768: D3F30074 1DD22158
	v_mfma_f32_16x16x32_fp8_fp8 v[116:119], a[90:91], a[18:19], v[116:119]// 000000003770: D3F30074 1DD2255A
	v_mfma_f32_16x16x32_fp8_fp8 v[116:119], a[92:93], a[20:21], v[116:119]// 000000003778: D3F30074 1DD2295C
	v_mfma_f32_16x16x32_fp8_fp8 v[116:119], a[94:95], a[22:23], v[116:119]// 000000003780: D3F30074 1DD22D5E
	v_mfma_f32_16x16x32_fp8_fp8 v[72:75], a[64:65], a[24:25], v[72:75]// 000000003788: D3F30048 1D223140
	v_mfma_f32_16x16x32_fp8_fp8 v[72:75], a[66:67], a[26:27], v[72:75]// 000000003790: D3F30048 1D223542
	v_mfma_f32_16x16x32_fp8_fp8 v[72:75], a[68:69], a[28:29], v[72:75]// 000000003798: D3F30048 1D223944
	v_mfma_f32_16x16x32_fp8_fp8 v[72:75], a[70:71], a[30:31], v[72:75]// 0000000037A0: D3F30048 1D223D46
	v_mfma_f32_16x16x32_fp8_fp8 v[88:91], a[72:73], a[24:25], v[88:91]// 0000000037A8: D3F30058 1D623148
	v_mfma_f32_16x16x32_fp8_fp8 v[88:91], a[74:75], a[26:27], v[88:91]// 0000000037B0: D3F30058 1D62354A
	v_mfma_f32_16x16x32_fp8_fp8 v[88:91], a[76:77], a[28:29], v[88:91]// 0000000037B8: D3F30058 1D62394C
	v_mfma_f32_16x16x32_fp8_fp8 v[88:91], a[78:79], a[30:31], v[88:91]// 0000000037C0: D3F30058 1D623D4E
	v_mfma_f32_16x16x32_fp8_fp8 v[104:107], a[80:81], a[24:25], v[104:107]// 0000000037C8: D3F30068 1DA23150
	v_mfma_f32_16x16x32_fp8_fp8 v[104:107], a[82:83], a[26:27], v[104:107]// 0000000037D0: D3F30068 1DA23552
	v_mfma_f32_16x16x32_fp8_fp8 v[104:107], a[84:85], a[28:29], v[104:107]// 0000000037D8: D3F30068 1DA23954
	v_mfma_f32_16x16x32_fp8_fp8 v[104:107], a[86:87], a[30:31], v[104:107]// 0000000037E0: D3F30068 1DA23D56
	v_mfma_f32_16x16x32_fp8_fp8 v[120:123], a[88:89], a[24:25], v[120:123]// 0000000037E8: D3F30078 1DE23158
	v_mfma_f32_16x16x32_fp8_fp8 v[120:123], a[90:91], a[26:27], v[120:123]// 0000000037F0: D3F30078 1DE2355A
	v_mfma_f32_16x16x32_fp8_fp8 v[120:123], a[92:93], a[28:29], v[120:123]// 0000000037F8: D3F30078 1DE2395C
	v_mfma_f32_16x16x32_fp8_fp8 v[120:123], a[94:95], a[30:31], v[120:123]// 000000003800: D3F30078 1DE23D5E
	s_waitcnt vmcnt(16)                                        // 000000003808: BF8C4F70
	s_barrier                                                  // 00000000380C: BF8A0000
	v_mfma_f32_16x16x32_fp8_fp8 v[124:127], a[96:97], a[0:1], v[124:127]// 000000003810: D3F3007C 1DF20160
	v_mfma_f32_16x16x32_fp8_fp8 v[124:127], a[98:99], a[2:3], v[124:127]// 000000003818: D3F3007C 1DF20562
	buffer_load_dwordx4 a[64:67], v54, s[84:87], 0 offen       // 000000003820: E05C1000 80954036
	v_mfma_f32_16x16x32_fp8_fp8 v[124:127], a[100:101], a[4:5], v[124:127]// 000000003828: D3F3007C 1DF20964
	v_mfma_f32_16x16x32_fp8_fp8 v[124:127], a[102:103], a[6:7], v[124:127]// 000000003830: D3F3007C 1DF20D66
	ds_read_b128 a[32:35], v2 offset:8320                      // 000000003838: DBFE2080 20000002
	ds_read_b128 a[36:39], v2 offset:8384                      // 000000003840: DBFE20C0 24000002
	v_mfma_f32_16x16x32_fp8_fp8 v[140:143], a[104:105], a[0:1], v[140:143]// 000000003848: D3F3008C 1E320168
	v_mfma_f32_16x16x32_fp8_fp8 v[140:143], a[106:107], a[2:3], v[140:143]// 000000003850: D3F3008C 1E32056A
	buffer_load_dwordx4 a[68:71], v54, s[84:87], 0 offen offset:1024// 000000003858: E05C1400 80954436
	v_mfma_f32_16x16x32_fp8_fp8 v[140:143], a[108:109], a[4:5], v[140:143]// 000000003860: D3F3008C 1E32096C
	v_mfma_f32_16x16x32_fp8_fp8 v[140:143], a[110:111], a[6:7], v[140:143]// 000000003868: D3F3008C 1E320D6E
	ds_read_b128 a[40:43], v2 offset:8832                      // 000000003870: DBFE2280 28000002
	ds_read_b128 a[44:47], v2 offset:8896                      // 000000003878: DBFE22C0 2C000002
	v_mfma_f32_16x16x32_fp8_fp8 v[156:159], a[112:113], a[0:1], v[156:159]// 000000003880: D3F3009C 1E720170
	v_mfma_f32_16x16x32_fp8_fp8 v[156:159], a[114:115], a[2:3], v[156:159]// 000000003888: D3F3009C 1E720572
	buffer_load_dwordx4 a[72:75], v55, s[84:87], 0 offen       // 000000003890: E05C1000 80954837
	v_mfma_f32_16x16x32_fp8_fp8 v[156:159], a[116:117], a[4:5], v[156:159]// 000000003898: D3F3009C 1E720974
	v_mfma_f32_16x16x32_fp8_fp8 v[156:159], a[118:119], a[6:7], v[156:159]// 0000000038A0: D3F3009C 1E720D76
	ds_read_b128 a[48:51], v2 offset:9344                      // 0000000038A8: DBFE2480 30000002
	ds_read_b128 a[52:55], v2 offset:9408                      // 0000000038B0: DBFE24C0 34000002
	v_mfma_f32_16x16x32_fp8_fp8 v[172:175], a[120:121], a[0:1], v[172:175]// 0000000038B8: D3F300AC 1EB20178
	v_mfma_f32_16x16x32_fp8_fp8 v[172:175], a[122:123], a[2:3], v[172:175]// 0000000038C0: D3F300AC 1EB2057A
	buffer_load_dwordx4 a[76:79], v55, s[84:87], 0 offen offset:1024// 0000000038C8: E05C1400 80954C37
	v_mfma_f32_16x16x32_fp8_fp8 v[172:175], a[124:125], a[4:5], v[172:175]// 0000000038D0: D3F300AC 1EB2097C
	v_mfma_f32_16x16x32_fp8_fp8 v[172:175], a[126:127], a[6:7], v[172:175]// 0000000038D8: D3F300AC 1EB20D7E
	ds_read_b128 a[56:59], v2 offset:9856                      // 0000000038E0: DBFE2680 38000002
	ds_read_b128 a[60:63], v2 offset:9920                      // 0000000038E8: DBFE26C0 3C000002
	v_mfma_f32_16x16x32_fp8_fp8 v[128:131], a[96:97], a[8:9], v[128:131]// 0000000038F0: D3F30080 1E021160
	v_mfma_f32_16x16x32_fp8_fp8 v[128:131], a[98:99], a[10:11], v[128:131]// 0000000038F8: D3F30080 1E021562
	buffer_load_dwordx4 a[80:83], v56, s[84:87], 0 offen       // 000000003900: E05C1000 80955038
	v_mfma_f32_16x16x32_fp8_fp8 v[128:131], a[100:101], a[12:13], v[128:131]// 000000003908: D3F30080 1E021964
	v_mfma_f32_16x16x32_fp8_fp8 v[128:131], a[102:103], a[14:15], v[128:131]// 000000003910: D3F30080 1E021D66
	v_mfma_f32_16x16x32_fp8_fp8 v[144:147], a[104:105], a[8:9], v[144:147]// 000000003918: D3F30090 1E421168
	v_mfma_f32_16x16x32_fp8_fp8 v[144:147], a[106:107], a[10:11], v[144:147]// 000000003920: D3F30090 1E42156A
	buffer_load_dwordx4 a[84:87], v56, s[84:87], 0 offen offset:1024// 000000003928: E05C1400 80955438
	v_mfma_f32_16x16x32_fp8_fp8 v[144:147], a[108:109], a[12:13], v[144:147]// 000000003930: D3F30090 1E42196C
	v_mfma_f32_16x16x32_fp8_fp8 v[144:147], a[110:111], a[14:15], v[144:147]// 000000003938: D3F30090 1E421D6E
	v_mfma_f32_16x16x32_fp8_fp8 v[160:163], a[112:113], a[8:9], v[160:163]// 000000003940: D3F300A0 1E821170
	v_mfma_f32_16x16x32_fp8_fp8 v[160:163], a[114:115], a[10:11], v[160:163]// 000000003948: D3F300A0 1E821572
	buffer_load_dwordx4 a[88:91], v57, s[84:87], 0 offen       // 000000003950: E05C1000 80955839
	v_mfma_f32_16x16x32_fp8_fp8 v[160:163], a[116:117], a[12:13], v[160:163]// 000000003958: D3F300A0 1E821974
	v_mfma_f32_16x16x32_fp8_fp8 v[160:163], a[118:119], a[14:15], v[160:163]// 000000003960: D3F300A0 1E821D76
	v_mfma_f32_16x16x32_fp8_fp8 v[176:179], a[120:121], a[8:9], v[176:179]// 000000003968: D3F300B0 1EC21178
	v_mfma_f32_16x16x32_fp8_fp8 v[176:179], a[122:123], a[10:11], v[176:179]// 000000003970: D3F300B0 1EC2157A
	buffer_load_dwordx4 a[92:95], v57, s[84:87], 0 offen offset:1024// 000000003978: E05C1400 80955C39
	v_mfma_f32_16x16x32_fp8_fp8 v[176:179], a[124:125], a[12:13], v[176:179]// 000000003980: D3F300B0 1EC2197C
	v_mfma_f32_16x16x32_fp8_fp8 v[176:179], a[126:127], a[14:15], v[176:179]// 000000003988: D3F300B0 1EC21D7E
	v_mfma_f32_16x16x32_fp8_fp8 v[132:135], a[96:97], a[16:17], v[132:135]// 000000003990: D3F30084 1E122160
	v_mfma_f32_16x16x32_fp8_fp8 v[132:135], a[98:99], a[18:19], v[132:135]// 000000003998: D3F30084 1E122562
	v_mfma_f32_16x16x32_fp8_fp8 v[132:135], a[100:101], a[20:21], v[132:135]// 0000000039A0: D3F30084 1E122964
	v_mfma_f32_16x16x32_fp8_fp8 v[132:135], a[102:103], a[22:23], v[132:135]// 0000000039A8: D3F30084 1E122D66
	v_mfma_f32_16x16x32_fp8_fp8 v[148:151], a[104:105], a[16:17], v[148:151]// 0000000039B0: D3F30094 1E522168
	v_mfma_f32_16x16x32_fp8_fp8 v[148:151], a[106:107], a[18:19], v[148:151]// 0000000039B8: D3F30094 1E52256A
	v_mfma_f32_16x16x32_fp8_fp8 v[148:151], a[108:109], a[20:21], v[148:151]// 0000000039C0: D3F30094 1E52296C
	v_mfma_f32_16x16x32_fp8_fp8 v[148:151], a[110:111], a[22:23], v[148:151]// 0000000039C8: D3F30094 1E522D6E
	v_mfma_f32_16x16x32_fp8_fp8 v[164:167], a[112:113], a[16:17], v[164:167]// 0000000039D0: D3F300A4 1E922170
	v_mfma_f32_16x16x32_fp8_fp8 v[164:167], a[114:115], a[18:19], v[164:167]// 0000000039D8: D3F300A4 1E922572
	v_mfma_f32_16x16x32_fp8_fp8 v[164:167], a[116:117], a[20:21], v[164:167]// 0000000039E0: D3F300A4 1E922974
	v_mfma_f32_16x16x32_fp8_fp8 v[164:167], a[118:119], a[22:23], v[164:167]// 0000000039E8: D3F300A4 1E922D76
	v_mfma_f32_16x16x32_fp8_fp8 v[180:183], a[120:121], a[16:17], v[180:183]// 0000000039F0: D3F300B4 1ED22178
	v_mfma_f32_16x16x32_fp8_fp8 v[180:183], a[122:123], a[18:19], v[180:183]// 0000000039F8: D3F300B4 1ED2257A
	v_mfma_f32_16x16x32_fp8_fp8 v[180:183], a[124:125], a[20:21], v[180:183]// 000000003A00: D3F300B4 1ED2297C
	v_mfma_f32_16x16x32_fp8_fp8 v[180:183], a[126:127], a[22:23], v[180:183]// 000000003A08: D3F300B4 1ED22D7E
	v_mfma_f32_16x16x32_fp8_fp8 v[136:139], a[96:97], a[24:25], v[136:139]// 000000003A10: D3F30088 1E223160
	v_mfma_f32_16x16x32_fp8_fp8 v[136:139], a[98:99], a[26:27], v[136:139]// 000000003A18: D3F30088 1E223562
	v_mfma_f32_16x16x32_fp8_fp8 v[136:139], a[100:101], a[28:29], v[136:139]// 000000003A20: D3F30088 1E223964
	v_mfma_f32_16x16x32_fp8_fp8 v[136:139], a[102:103], a[30:31], v[136:139]// 000000003A28: D3F30088 1E223D66
	v_mfma_f32_16x16x32_fp8_fp8 v[152:155], a[104:105], a[24:25], v[152:155]// 000000003A30: D3F30098 1E623168
	v_mfma_f32_16x16x32_fp8_fp8 v[152:155], a[106:107], a[26:27], v[152:155]// 000000003A38: D3F30098 1E62356A
	v_mfma_f32_16x16x32_fp8_fp8 v[152:155], a[108:109], a[28:29], v[152:155]// 000000003A40: D3F30098 1E62396C
	v_mfma_f32_16x16x32_fp8_fp8 v[152:155], a[110:111], a[30:31], v[152:155]// 000000003A48: D3F30098 1E623D6E
	v_mfma_f32_16x16x32_fp8_fp8 v[168:171], a[112:113], a[24:25], v[168:171]// 000000003A50: D3F300A8 1EA23170
	s_add_u32 s60, 0x180, s80                                  // 000000003A58: 803C50FF 00000180
	s_cmp_lt_u32 s60, s81                                      // 000000003A60: BF0A513C
	s_cselect_b32 s57, s57, 0                                  // 000000003A64: 85398039
	v_mfma_f32_16x16x32_fp8_fp8 v[168:171], a[114:115], a[26:27], v[168:171]// 000000003A68: D3F300A8 1EA23572
	s_add_u32 s60, 0x100, s80                                  // 000000003A70: 803C50FF 00000100
	s_cmp_lt_u32 s60, s81                                      // 000000003A78: BF0A513C
	s_cselect_b32 s58, s58, 0                                  // 000000003A7C: 853A803A
	v_mfma_f32_16x16x32_fp8_fp8 v[168:171], a[116:117], a[28:29], v[168:171]// 000000003A80: D3F300A8 1EA23974
	s_add_u32 s60, 0x100, s80                                  // 000000003A88: 803C50FF 00000100
	s_cmp_lt_u32 s60, s81                                      // 000000003A90: BF0A513C
	s_cselect_b32 s83, s83, 0                                  // 000000003A94: 85538053
	v_mfma_f32_16x16x32_fp8_fp8 v[168:171], a[118:119], a[30:31], v[168:171]// 000000003A98: D3F300A8 1EA23D76
	s_add_u32 s24, s58, s24                                    // 000000003AA0: 8018183A
	s_addc_u32 s25, 0, s25                                     // 000000003AA4: 82191980
	v_mfma_f32_16x16x32_fp8_fp8 v[184:187], a[120:121], a[24:25], v[184:187]// 000000003AA8: D3F300B8 1EE23178
	s_add_u32 s20, s57, s20                                    // 000000003AB0: 80141439
	s_addc_u32 s21, 0, s21                                     // 000000003AB4: 82151580
	v_mfma_f32_16x16x32_fp8_fp8 v[184:187], a[122:123], a[26:27], v[184:187]// 000000003AB8: D3F300B8 1EE2357A
	s_add_u32 s84, s83, s84                                    // 000000003AC0: 80545453
	s_addc_u32 s85, 0, s85                                     // 000000003AC4: 82555580
	v_mfma_f32_16x16x32_fp8_fp8 v[184:187], a[124:125], a[28:29], v[184:187]// 000000003AC8: D3F300B8 1EE2397C
	v_mfma_f32_16x16x32_fp8_fp8 v[184:187], a[126:127], a[30:31], v[184:187]// 000000003AD0: D3F300B8 1EE23D7E
	s_addk_i32 s80, 0x80                                       // 000000003AD8: B7500080
	s_cmp_lt_i32 s80, s81                                      // 000000003ADC: BF045150
	s_cbranch_scc0 label_0B3D                                  // 000000003AE0: BF840704
	s_waitcnt vmcnt(16) lgkmcnt(0)                             // 000000003AE4: BF8C4070
	v_mfma_f32_16x16x32_fp8_fp8 v[60:63], a[128:129], a[32:33], v[60:63]// 000000003AE8: D3F3003C 1CF24180
	v_mfma_f32_16x16x32_fp8_fp8 v[60:63], a[130:131], a[34:35], v[60:63]// 000000003AF0: D3F3003C 1CF24582
	buffer_load_dwordx4 a[96:99], v54, s[24:27], 0 offen       // 000000003AF8: E05C1000 80866036
	v_mfma_f32_16x16x32_fp8_fp8 v[60:63], a[132:133], a[36:37], v[60:63]// 000000003B00: D3F3003C 1CF24984
	v_mfma_f32_16x16x32_fp8_fp8 v[60:63], a[134:135], a[38:39], v[60:63]// 000000003B08: D3F3003C 1CF24D86
	v_mfma_f32_16x16x32_fp8_fp8 v[76:79], a[136:137], a[32:33], v[76:79]// 000000003B10: D3F3004C 1D324188
	v_mfma_f32_16x16x32_fp8_fp8 v[76:79], a[138:139], a[34:35], v[76:79]// 000000003B18: D3F3004C 1D32458A
	buffer_load_dwordx4 a[100:103], v54, s[24:27], 0 offen offset:1024// 000000003B20: E05C1400 80866436
	v_mfma_f32_16x16x32_fp8_fp8 v[76:79], a[140:141], a[36:37], v[76:79]// 000000003B28: D3F3004C 1D32498C
	v_mfma_f32_16x16x32_fp8_fp8 v[76:79], a[142:143], a[38:39], v[76:79]// 000000003B30: D3F3004C 1D324D8E
	v_mfma_f32_16x16x32_fp8_fp8 v[92:95], a[144:145], a[32:33], v[92:95]// 000000003B38: D3F3005C 1D724190
	v_mfma_f32_16x16x32_fp8_fp8 v[92:95], a[146:147], a[34:35], v[92:95]// 000000003B40: D3F3005C 1D724592
	buffer_load_dwordx4 a[104:107], v55, s[24:27], 0 offen     // 000000003B48: E05C1000 80866837
	v_mfma_f32_16x16x32_fp8_fp8 v[92:95], a[148:149], a[36:37], v[92:95]// 000000003B50: D3F3005C 1D724994
	v_mfma_f32_16x16x32_fp8_fp8 v[92:95], a[150:151], a[38:39], v[92:95]// 000000003B58: D3F3005C 1D724D96
	v_mfma_f32_16x16x32_fp8_fp8 v[108:111], a[152:153], a[32:33], v[108:111]// 000000003B60: D3F3006C 1DB24198
	v_mfma_f32_16x16x32_fp8_fp8 v[108:111], a[154:155], a[34:35], v[108:111]// 000000003B68: D3F3006C 1DB2459A
	buffer_load_dwordx4 a[108:111], v55, s[24:27], 0 offen offset:1024// 000000003B70: E05C1400 80866C37
	v_mfma_f32_16x16x32_fp8_fp8 v[108:111], a[156:157], a[36:37], v[108:111]// 000000003B78: D3F3006C 1DB2499C
	v_mfma_f32_16x16x32_fp8_fp8 v[108:111], a[158:159], a[38:39], v[108:111]// 000000003B80: D3F3006C 1DB24D9E
	v_mfma_f32_16x16x32_fp8_fp8 v[64:67], a[128:129], a[40:41], v[64:67]// 000000003B88: D3F30040 1D025180
	v_mfma_f32_16x16x32_fp8_fp8 v[64:67], a[130:131], a[42:43], v[64:67]// 000000003B90: D3F30040 1D025582
	buffer_load_dwordx4 a[112:115], v56, s[24:27], 0 offen     // 000000003B98: E05C1000 80867038
	v_mfma_f32_16x16x32_fp8_fp8 v[64:67], a[132:133], a[44:45], v[64:67]// 000000003BA0: D3F30040 1D025984
	v_mfma_f32_16x16x32_fp8_fp8 v[64:67], a[134:135], a[46:47], v[64:67]// 000000003BA8: D3F30040 1D025D86
	v_mfma_f32_16x16x32_fp8_fp8 v[80:83], a[136:137], a[40:41], v[80:83]// 000000003BB0: D3F30050 1D425188
	v_mfma_f32_16x16x32_fp8_fp8 v[80:83], a[138:139], a[42:43], v[80:83]// 000000003BB8: D3F30050 1D42558A
	buffer_load_dwordx4 a[116:119], v56, s[24:27], 0 offen offset:1024// 000000003BC0: E05C1400 80867438
	v_mfma_f32_16x16x32_fp8_fp8 v[80:83], a[140:141], a[44:45], v[80:83]// 000000003BC8: D3F30050 1D42598C
	v_mfma_f32_16x16x32_fp8_fp8 v[80:83], a[142:143], a[46:47], v[80:83]// 000000003BD0: D3F30050 1D425D8E
	v_mfma_f32_16x16x32_fp8_fp8 v[96:99], a[144:145], a[40:41], v[96:99]// 000000003BD8: D3F30060 1D825190
	v_mfma_f32_16x16x32_fp8_fp8 v[96:99], a[146:147], a[42:43], v[96:99]// 000000003BE0: D3F30060 1D825592
	buffer_load_dwordx4 a[120:123], v57, s[24:27], 0 offen     // 000000003BE8: E05C1000 80867839
	v_mfma_f32_16x16x32_fp8_fp8 v[96:99], a[148:149], a[44:45], v[96:99]// 000000003BF0: D3F30060 1D825994
	v_mfma_f32_16x16x32_fp8_fp8 v[96:99], a[150:151], a[46:47], v[96:99]// 000000003BF8: D3F30060 1D825D96
	v_mfma_f32_16x16x32_fp8_fp8 v[112:115], a[152:153], a[40:41], v[112:115]// 000000003C00: D3F30070 1DC25198
	v_mfma_f32_16x16x32_fp8_fp8 v[112:115], a[154:155], a[42:43], v[112:115]// 000000003C08: D3F30070 1DC2559A
	buffer_load_dwordx4 a[124:127], v57, s[24:27], 0 offen offset:1024// 000000003C10: E05C1400 80867C39
	buffer_load_dword v46, s[20:23], 0 offen lds               // 000000003C18: E0511000 8005002E
	s_add_u32 m0, 0x100, s48                                   // 000000003C20: 807C30FF 00000100
	v_mfma_f32_16x16x32_fp8_fp8 v[112:115], a[156:157], a[44:45], v[112:115]// 000000003C28: D3F30070 1DC2599C
	v_mfma_f32_16x16x32_fp8_fp8 v[112:115], a[158:159], a[46:47], v[112:115]// 000000003C30: D3F30070 1DC25D9E
	buffer_load_dword v47, s[20:23], 0 offen lds               // 000000003C38: E0511000 8005002F
	s_add_u32 m0, 0x200, s48                                   // 000000003C40: 807C30FF 00000200
	v_mfma_f32_16x16x32_fp8_fp8 v[68:71], a[128:129], a[48:49], v[68:71]// 000000003C48: D3F30044 1D126180
	v_mfma_f32_16x16x32_fp8_fp8 v[68:71], a[130:131], a[50:51], v[68:71]// 000000003C50: D3F30044 1D126582
	buffer_load_dword v48, s[20:23], 0 offen lds               // 000000003C58: E0511000 80050030
	s_add_u32 m0, 0x300, s48                                   // 000000003C60: 807C30FF 00000300
	v_mfma_f32_16x16x32_fp8_fp8 v[68:71], a[132:133], a[52:53], v[68:71]// 000000003C68: D3F30044 1D126984
	v_mfma_f32_16x16x32_fp8_fp8 v[68:71], a[134:135], a[54:55], v[68:71]// 000000003C70: D3F30044 1D126D86
	buffer_load_dword v49, s[20:23], 0 offen lds               // 000000003C78: E0511000 80050031
	s_add_u32 m0, 0x400, s48                                   // 000000003C80: 807C30FF 00000400
	v_mfma_f32_16x16x32_fp8_fp8 v[84:87], a[136:137], a[48:49], v[84:87]// 000000003C88: D3F30054 1D526188
	v_mfma_f32_16x16x32_fp8_fp8 v[84:87], a[138:139], a[50:51], v[84:87]// 000000003C90: D3F30054 1D52658A
	buffer_load_dword v50, s[20:23], 0 offen lds               // 000000003C98: E0511000 80050032
	s_add_u32 m0, 0x500, s48                                   // 000000003CA0: 807C30FF 00000500
	v_mfma_f32_16x16x32_fp8_fp8 v[84:87], a[140:141], a[52:53], v[84:87]// 000000003CA8: D3F30054 1D52698C
	v_mfma_f32_16x16x32_fp8_fp8 v[84:87], a[142:143], a[54:55], v[84:87]// 000000003CB0: D3F30054 1D526D8E
	buffer_load_dword v51, s[20:23], 0 offen lds               // 000000003CB8: E0511000 80050033
	s_add_u32 m0, 0x600, s48                                   // 000000003CC0: 807C30FF 00000600
	v_mfma_f32_16x16x32_fp8_fp8 v[100:103], a[144:145], a[48:49], v[100:103]// 000000003CC8: D3F30064 1D926190
	v_mfma_f32_16x16x32_fp8_fp8 v[100:103], a[146:147], a[50:51], v[100:103]// 000000003CD0: D3F30064 1D926592
	buffer_load_dword v52, s[20:23], 0 offen lds               // 000000003CD8: E0511000 80050034
	s_add_u32 m0, 0x700, s48                                   // 000000003CE0: 807C30FF 00000700
	v_mfma_f32_16x16x32_fp8_fp8 v[100:103], a[148:149], a[52:53], v[100:103]// 000000003CE8: D3F30064 1D926994
	v_mfma_f32_16x16x32_fp8_fp8 v[100:103], a[150:151], a[54:55], v[100:103]// 000000003CF0: D3F30064 1D926D96
	buffer_load_dword v53, s[20:23], 0 offen lds               // 000000003CF8: E0511000 80050035
	s_add_u32 m0, 0, s49                                       // 000000003D00: 807C3180
	v_mfma_f32_16x16x32_fp8_fp8 v[116:119], a[152:153], a[48:49], v[116:119]// 000000003D04: D3F30074 1DD26198
	v_mfma_f32_16x16x32_fp8_fp8 v[116:119], a[154:155], a[50:51], v[116:119]// 000000003D0C: D3F30074 1DD2659A
	v_mfma_f32_16x16x32_fp8_fp8 v[116:119], a[156:157], a[52:53], v[116:119]// 000000003D14: D3F30074 1DD2699C
	v_mfma_f32_16x16x32_fp8_fp8 v[116:119], a[158:159], a[54:55], v[116:119]// 000000003D1C: D3F30074 1DD26D9E
	v_mfma_f32_16x16x32_fp8_fp8 v[72:75], a[128:129], a[56:57], v[72:75]// 000000003D24: D3F30048 1D227180
	v_mfma_f32_16x16x32_fp8_fp8 v[72:75], a[130:131], a[58:59], v[72:75]// 000000003D2C: D3F30048 1D227582
	v_mfma_f32_16x16x32_fp8_fp8 v[72:75], a[132:133], a[60:61], v[72:75]// 000000003D34: D3F30048 1D227984
	v_mfma_f32_16x16x32_fp8_fp8 v[72:75], a[134:135], a[62:63], v[72:75]// 000000003D3C: D3F30048 1D227D86
	v_mfma_f32_16x16x32_fp8_fp8 v[88:91], a[136:137], a[56:57], v[88:91]// 000000003D44: D3F30058 1D627188
	v_mfma_f32_16x16x32_fp8_fp8 v[88:91], a[138:139], a[58:59], v[88:91]// 000000003D4C: D3F30058 1D62758A
	v_mfma_f32_16x16x32_fp8_fp8 v[88:91], a[140:141], a[60:61], v[88:91]// 000000003D54: D3F30058 1D62798C
	v_mfma_f32_16x16x32_fp8_fp8 v[88:91], a[142:143], a[62:63], v[88:91]// 000000003D5C: D3F30058 1D627D8E
	v_mfma_f32_16x16x32_fp8_fp8 v[104:107], a[144:145], a[56:57], v[104:107]// 000000003D64: D3F30068 1DA27190
	v_mfma_f32_16x16x32_fp8_fp8 v[104:107], a[146:147], a[58:59], v[104:107]// 000000003D6C: D3F30068 1DA27592
	v_mfma_f32_16x16x32_fp8_fp8 v[104:107], a[148:149], a[60:61], v[104:107]// 000000003D74: D3F30068 1DA27994
	v_mfma_f32_16x16x32_fp8_fp8 v[104:107], a[150:151], a[62:63], v[104:107]// 000000003D7C: D3F30068 1DA27D96
	v_mfma_f32_16x16x32_fp8_fp8 v[120:123], a[152:153], a[56:57], v[120:123]// 000000003D84: D3F30078 1DE27198
	v_mfma_f32_16x16x32_fp8_fp8 v[120:123], a[154:155], a[58:59], v[120:123]// 000000003D8C: D3F30078 1DE2759A
	v_mfma_f32_16x16x32_fp8_fp8 v[120:123], a[156:157], a[60:61], v[120:123]// 000000003D94: D3F30078 1DE2799C
	v_mfma_f32_16x16x32_fp8_fp8 v[120:123], a[158:159], a[62:63], v[120:123]// 000000003D9C: D3F30078 1DE27D9E
	s_waitcnt vmcnt(16)                                        // 000000003DA4: BF8C4F70
	s_barrier                                                  // 000000003DA8: BF8A0000
	v_mfma_f32_16x16x32_fp8_fp8 v[124:127], a[64:65], a[32:33], v[124:127]// 000000003DAC: D3F3007C 1DF24140
	v_mfma_f32_16x16x32_fp8_fp8 v[124:127], a[66:67], a[34:35], v[124:127]// 000000003DB4: D3F3007C 1DF24542
	buffer_load_dwordx4 a[128:131], v54, s[84:87], 0 offen     // 000000003DBC: E05C1000 80958036
	v_mfma_f32_16x16x32_fp8_fp8 v[124:127], a[68:69], a[36:37], v[124:127]// 000000003DC4: D3F3007C 1DF24944
	v_mfma_f32_16x16x32_fp8_fp8 v[124:127], a[70:71], a[38:39], v[124:127]// 000000003DCC: D3F3007C 1DF24D46
	ds_read_b128 a[0:3], v2 offset:16640                       // 000000003DD4: DBFE4100 00000002
	ds_read_b128 a[4:7], v2 offset:16704                       // 000000003DDC: DBFE4140 04000002
	v_mfma_f32_16x16x32_fp8_fp8 v[140:143], a[72:73], a[32:33], v[140:143]// 000000003DE4: D3F3008C 1E324148
	v_mfma_f32_16x16x32_fp8_fp8 v[140:143], a[74:75], a[34:35], v[140:143]// 000000003DEC: D3F3008C 1E32454A
	buffer_load_dwordx4 a[132:135], v54, s[84:87], 0 offen offset:1024// 000000003DF4: E05C1400 80958436
	v_mfma_f32_16x16x32_fp8_fp8 v[140:143], a[76:77], a[36:37], v[140:143]// 000000003DFC: D3F3008C 1E32494C
	v_mfma_f32_16x16x32_fp8_fp8 v[140:143], a[78:79], a[38:39], v[140:143]// 000000003E04: D3F3008C 1E324D4E
	ds_read_b128 a[8:11], v2 offset:17152                      // 000000003E0C: DBFE4300 08000002
	ds_read_b128 a[12:15], v2 offset:17216                     // 000000003E14: DBFE4340 0C000002
	v_mfma_f32_16x16x32_fp8_fp8 v[156:159], a[80:81], a[32:33], v[156:159]// 000000003E1C: D3F3009C 1E724150
	v_mfma_f32_16x16x32_fp8_fp8 v[156:159], a[82:83], a[34:35], v[156:159]// 000000003E24: D3F3009C 1E724552
	buffer_load_dwordx4 a[136:139], v55, s[84:87], 0 offen     // 000000003E2C: E05C1000 80958837
	v_mfma_f32_16x16x32_fp8_fp8 v[156:159], a[84:85], a[36:37], v[156:159]// 000000003E34: D3F3009C 1E724954
	v_mfma_f32_16x16x32_fp8_fp8 v[156:159], a[86:87], a[38:39], v[156:159]// 000000003E3C: D3F3009C 1E724D56
	ds_read_b128 a[16:19], v2 offset:17664                     // 000000003E44: DBFE4500 10000002
	ds_read_b128 a[20:23], v2 offset:17728                     // 000000003E4C: DBFE4540 14000002
	v_mfma_f32_16x16x32_fp8_fp8 v[172:175], a[88:89], a[32:33], v[172:175]// 000000003E54: D3F300AC 1EB24158
	v_mfma_f32_16x16x32_fp8_fp8 v[172:175], a[90:91], a[34:35], v[172:175]// 000000003E5C: D3F300AC 1EB2455A
	buffer_load_dwordx4 a[140:143], v55, s[84:87], 0 offen offset:1024// 000000003E64: E05C1400 80958C37
	v_mfma_f32_16x16x32_fp8_fp8 v[172:175], a[92:93], a[36:37], v[172:175]// 000000003E6C: D3F300AC 1EB2495C
	v_mfma_f32_16x16x32_fp8_fp8 v[172:175], a[94:95], a[38:39], v[172:175]// 000000003E74: D3F300AC 1EB24D5E
	ds_read_b128 a[24:27], v2 offset:18176                     // 000000003E7C: DBFE4700 18000002
	ds_read_b128 a[28:31], v2 offset:18240                     // 000000003E84: DBFE4740 1C000002
	v_mfma_f32_16x16x32_fp8_fp8 v[128:131], a[64:65], a[40:41], v[128:131]// 000000003E8C: D3F30080 1E025140
	v_mfma_f32_16x16x32_fp8_fp8 v[128:131], a[66:67], a[42:43], v[128:131]// 000000003E94: D3F30080 1E025542
	buffer_load_dwordx4 a[144:147], v56, s[84:87], 0 offen     // 000000003E9C: E05C1000 80959038
	v_mfma_f32_16x16x32_fp8_fp8 v[128:131], a[68:69], a[44:45], v[128:131]// 000000003EA4: D3F30080 1E025944
	v_mfma_f32_16x16x32_fp8_fp8 v[128:131], a[70:71], a[46:47], v[128:131]// 000000003EAC: D3F30080 1E025D46
	v_mfma_f32_16x16x32_fp8_fp8 v[144:147], a[72:73], a[40:41], v[144:147]// 000000003EB4: D3F30090 1E425148
	v_mfma_f32_16x16x32_fp8_fp8 v[144:147], a[74:75], a[42:43], v[144:147]// 000000003EBC: D3F30090 1E42554A
	buffer_load_dwordx4 a[148:151], v56, s[84:87], 0 offen offset:1024// 000000003EC4: E05C1400 80959438
	v_mfma_f32_16x16x32_fp8_fp8 v[144:147], a[76:77], a[44:45], v[144:147]// 000000003ECC: D3F30090 1E42594C
	v_mfma_f32_16x16x32_fp8_fp8 v[144:147], a[78:79], a[46:47], v[144:147]// 000000003ED4: D3F30090 1E425D4E
	v_mfma_f32_16x16x32_fp8_fp8 v[160:163], a[80:81], a[40:41], v[160:163]// 000000003EDC: D3F300A0 1E825150
	v_mfma_f32_16x16x32_fp8_fp8 v[160:163], a[82:83], a[42:43], v[160:163]// 000000003EE4: D3F300A0 1E825552
	buffer_load_dwordx4 a[152:155], v57, s[84:87], 0 offen     // 000000003EEC: E05C1000 80959839
	v_mfma_f32_16x16x32_fp8_fp8 v[160:163], a[84:85], a[44:45], v[160:163]// 000000003EF4: D3F300A0 1E825954
	v_mfma_f32_16x16x32_fp8_fp8 v[160:163], a[86:87], a[46:47], v[160:163]// 000000003EFC: D3F300A0 1E825D56
	v_mfma_f32_16x16x32_fp8_fp8 v[176:179], a[88:89], a[40:41], v[176:179]// 000000003F04: D3F300B0 1EC25158
	v_mfma_f32_16x16x32_fp8_fp8 v[176:179], a[90:91], a[42:43], v[176:179]// 000000003F0C: D3F300B0 1EC2555A
	buffer_load_dwordx4 a[156:159], v57, s[84:87], 0 offen offset:1024// 000000003F14: E05C1400 80959C39
	v_mfma_f32_16x16x32_fp8_fp8 v[176:179], a[92:93], a[44:45], v[176:179]// 000000003F1C: D3F300B0 1EC2595C
	v_mfma_f32_16x16x32_fp8_fp8 v[176:179], a[94:95], a[46:47], v[176:179]// 000000003F24: D3F300B0 1EC25D5E
	v_mfma_f32_16x16x32_fp8_fp8 v[132:135], a[64:65], a[48:49], v[132:135]// 000000003F2C: D3F30084 1E126140
	v_mfma_f32_16x16x32_fp8_fp8 v[132:135], a[66:67], a[50:51], v[132:135]// 000000003F34: D3F30084 1E126542
	v_mfma_f32_16x16x32_fp8_fp8 v[132:135], a[68:69], a[52:53], v[132:135]// 000000003F3C: D3F30084 1E126944
	v_mfma_f32_16x16x32_fp8_fp8 v[132:135], a[70:71], a[54:55], v[132:135]// 000000003F44: D3F30084 1E126D46
	v_mfma_f32_16x16x32_fp8_fp8 v[148:151], a[72:73], a[48:49], v[148:151]// 000000003F4C: D3F30094 1E526148
	v_mfma_f32_16x16x32_fp8_fp8 v[148:151], a[74:75], a[50:51], v[148:151]// 000000003F54: D3F30094 1E52654A
	v_mfma_f32_16x16x32_fp8_fp8 v[148:151], a[76:77], a[52:53], v[148:151]// 000000003F5C: D3F30094 1E52694C
	v_mfma_f32_16x16x32_fp8_fp8 v[148:151], a[78:79], a[54:55], v[148:151]// 000000003F64: D3F30094 1E526D4E
	v_mfma_f32_16x16x32_fp8_fp8 v[164:167], a[80:81], a[48:49], v[164:167]// 000000003F6C: D3F300A4 1E926150
	v_mfma_f32_16x16x32_fp8_fp8 v[164:167], a[82:83], a[50:51], v[164:167]// 000000003F74: D3F300A4 1E926552
	v_mfma_f32_16x16x32_fp8_fp8 v[164:167], a[84:85], a[52:53], v[164:167]// 000000003F7C: D3F300A4 1E926954
	v_mfma_f32_16x16x32_fp8_fp8 v[164:167], a[86:87], a[54:55], v[164:167]// 000000003F84: D3F300A4 1E926D56
	v_mfma_f32_16x16x32_fp8_fp8 v[180:183], a[88:89], a[48:49], v[180:183]// 000000003F8C: D3F300B4 1ED26158
	v_mfma_f32_16x16x32_fp8_fp8 v[180:183], a[90:91], a[50:51], v[180:183]// 000000003F94: D3F300B4 1ED2655A
	v_mfma_f32_16x16x32_fp8_fp8 v[180:183], a[92:93], a[52:53], v[180:183]// 000000003F9C: D3F300B4 1ED2695C
	v_mfma_f32_16x16x32_fp8_fp8 v[180:183], a[94:95], a[54:55], v[180:183]// 000000003FA4: D3F300B4 1ED26D5E
	v_mfma_f32_16x16x32_fp8_fp8 v[136:139], a[64:65], a[56:57], v[136:139]// 000000003FAC: D3F30088 1E227140
	v_mfma_f32_16x16x32_fp8_fp8 v[136:139], a[66:67], a[58:59], v[136:139]// 000000003FB4: D3F30088 1E227542
	v_mfma_f32_16x16x32_fp8_fp8 v[136:139], a[68:69], a[60:61], v[136:139]// 000000003FBC: D3F30088 1E227944
	v_mfma_f32_16x16x32_fp8_fp8 v[136:139], a[70:71], a[62:63], v[136:139]// 000000003FC4: D3F30088 1E227D46
	v_mfma_f32_16x16x32_fp8_fp8 v[152:155], a[72:73], a[56:57], v[152:155]// 000000003FCC: D3F30098 1E627148
	v_mfma_f32_16x16x32_fp8_fp8 v[152:155], a[74:75], a[58:59], v[152:155]// 000000003FD4: D3F30098 1E62754A
	v_mfma_f32_16x16x32_fp8_fp8 v[152:155], a[76:77], a[60:61], v[152:155]// 000000003FDC: D3F30098 1E62794C
	v_mfma_f32_16x16x32_fp8_fp8 v[152:155], a[78:79], a[62:63], v[152:155]// 000000003FE4: D3F30098 1E627D4E
	v_mfma_f32_16x16x32_fp8_fp8 v[168:171], a[80:81], a[56:57], v[168:171]// 000000003FEC: D3F300A8 1EA27150
	s_add_u32 s60, 0x180, s80                                  // 000000003FF4: 803C50FF 00000180
	s_cmp_lt_u32 s60, s81                                      // 000000003FFC: BF0A513C
	s_cselect_b32 s57, s57, 0                                  // 000000004000: 85398039
	v_mfma_f32_16x16x32_fp8_fp8 v[168:171], a[82:83], a[58:59], v[168:171]// 000000004004: D3F300A8 1EA27552
	s_add_u32 s60, 0x100, s80                                  // 00000000400C: 803C50FF 00000100
	s_cmp_lt_u32 s60, s81                                      // 000000004014: BF0A513C
	s_cselect_b32 s58, s58, 0                                  // 000000004018: 853A803A
	v_mfma_f32_16x16x32_fp8_fp8 v[168:171], a[84:85], a[60:61], v[168:171]// 00000000401C: D3F300A8 1EA27954
	s_add_u32 s60, 0x100, s80                                  // 000000004024: 803C50FF 00000100
	s_cmp_lt_u32 s60, s81                                      // 00000000402C: BF0A513C
	s_cselect_b32 s83, s83, 0                                  // 000000004030: 85538053
	v_mfma_f32_16x16x32_fp8_fp8 v[168:171], a[86:87], a[62:63], v[168:171]// 000000004034: D3F300A8 1EA27D56
	s_add_u32 s24, s58, s24                                    // 00000000403C: 8018183A
	s_addc_u32 s25, 0, s25                                     // 000000004040: 82191980
	v_mfma_f32_16x16x32_fp8_fp8 v[184:187], a[88:89], a[56:57], v[184:187]// 000000004044: D3F300B8 1EE27158
	s_add_u32 s20, s57, s20                                    // 00000000404C: 80141439
	s_addc_u32 s21, 0, s21                                     // 000000004050: 82151580
	v_mfma_f32_16x16x32_fp8_fp8 v[184:187], a[90:91], a[58:59], v[184:187]// 000000004054: D3F300B8 1EE2755A
	s_add_u32 s84, s83, s84                                    // 00000000405C: 80545453
	s_addc_u32 s85, 0, s85                                     // 000000004060: 82555580
	v_mfma_f32_16x16x32_fp8_fp8 v[184:187], a[92:93], a[60:61], v[184:187]// 000000004064: D3F300B8 1EE2795C
	v_mfma_f32_16x16x32_fp8_fp8 v[184:187], a[94:95], a[62:63], v[184:187]// 00000000406C: D3F300B8 1EE27D5E
	s_addk_i32 s80, 0x80                                       // 000000004074: B7500080
	s_cmp_lt_i32 s80, s81                                      // 000000004078: BF045150
	s_cbranch_scc0 label_0B3D                                  // 00000000407C: BF84059D
	s_waitcnt vmcnt(16) lgkmcnt(0)                             // 000000004080: BF8C4070
	v_mfma_f32_16x16x32_fp8_fp8 v[60:63], a[96:97], a[0:1], v[60:63]// 000000004084: D3F3003C 1CF20160
	v_mfma_f32_16x16x32_fp8_fp8 v[60:63], a[98:99], a[2:3], v[60:63]// 00000000408C: D3F3003C 1CF20562
	buffer_load_dwordx4 a[64:67], v54, s[24:27], 0 offen       // 000000004094: E05C1000 80864036
	v_mfma_f32_16x16x32_fp8_fp8 v[60:63], a[100:101], a[4:5], v[60:63]// 00000000409C: D3F3003C 1CF20964
	v_mfma_f32_16x16x32_fp8_fp8 v[60:63], a[102:103], a[6:7], v[60:63]// 0000000040A4: D3F3003C 1CF20D66
	v_mfma_f32_16x16x32_fp8_fp8 v[76:79], a[104:105], a[0:1], v[76:79]// 0000000040AC: D3F3004C 1D320168
	v_mfma_f32_16x16x32_fp8_fp8 v[76:79], a[106:107], a[2:3], v[76:79]// 0000000040B4: D3F3004C 1D32056A
	buffer_load_dwordx4 a[68:71], v54, s[24:27], 0 offen offset:1024// 0000000040BC: E05C1400 80864436
	v_mfma_f32_16x16x32_fp8_fp8 v[76:79], a[108:109], a[4:5], v[76:79]// 0000000040C4: D3F3004C 1D32096C
	v_mfma_f32_16x16x32_fp8_fp8 v[76:79], a[110:111], a[6:7], v[76:79]// 0000000040CC: D3F3004C 1D320D6E
	v_mfma_f32_16x16x32_fp8_fp8 v[92:95], a[112:113], a[0:1], v[92:95]// 0000000040D4: D3F3005C 1D720170
	v_mfma_f32_16x16x32_fp8_fp8 v[92:95], a[114:115], a[2:3], v[92:95]// 0000000040DC: D3F3005C 1D720572
	buffer_load_dwordx4 a[72:75], v55, s[24:27], 0 offen       // 0000000040E4: E05C1000 80864837
	v_mfma_f32_16x16x32_fp8_fp8 v[92:95], a[116:117], a[4:5], v[92:95]// 0000000040EC: D3F3005C 1D720974
	v_mfma_f32_16x16x32_fp8_fp8 v[92:95], a[118:119], a[6:7], v[92:95]// 0000000040F4: D3F3005C 1D720D76
	v_mfma_f32_16x16x32_fp8_fp8 v[108:111], a[120:121], a[0:1], v[108:111]// 0000000040FC: D3F3006C 1DB20178
	v_mfma_f32_16x16x32_fp8_fp8 v[108:111], a[122:123], a[2:3], v[108:111]// 000000004104: D3F3006C 1DB2057A
	buffer_load_dwordx4 a[76:79], v55, s[24:27], 0 offen offset:1024// 00000000410C: E05C1400 80864C37
	v_mfma_f32_16x16x32_fp8_fp8 v[108:111], a[124:125], a[4:5], v[108:111]// 000000004114: D3F3006C 1DB2097C
	v_mfma_f32_16x16x32_fp8_fp8 v[108:111], a[126:127], a[6:7], v[108:111]// 00000000411C: D3F3006C 1DB20D7E
	v_mfma_f32_16x16x32_fp8_fp8 v[64:67], a[96:97], a[8:9], v[64:67]// 000000004124: D3F30040 1D021160
	v_mfma_f32_16x16x32_fp8_fp8 v[64:67], a[98:99], a[10:11], v[64:67]// 00000000412C: D3F30040 1D021562
	buffer_load_dwordx4 a[80:83], v56, s[24:27], 0 offen       // 000000004134: E05C1000 80865038
	v_mfma_f32_16x16x32_fp8_fp8 v[64:67], a[100:101], a[12:13], v[64:67]// 00000000413C: D3F30040 1D021964
	v_mfma_f32_16x16x32_fp8_fp8 v[64:67], a[102:103], a[14:15], v[64:67]// 000000004144: D3F30040 1D021D66
	v_mfma_f32_16x16x32_fp8_fp8 v[80:83], a[104:105], a[8:9], v[80:83]// 00000000414C: D3F30050 1D421168
	v_mfma_f32_16x16x32_fp8_fp8 v[80:83], a[106:107], a[10:11], v[80:83]// 000000004154: D3F30050 1D42156A
	buffer_load_dwordx4 a[84:87], v56, s[24:27], 0 offen offset:1024// 00000000415C: E05C1400 80865438
	v_mfma_f32_16x16x32_fp8_fp8 v[80:83], a[108:109], a[12:13], v[80:83]// 000000004164: D3F30050 1D42196C
	v_mfma_f32_16x16x32_fp8_fp8 v[80:83], a[110:111], a[14:15], v[80:83]// 00000000416C: D3F30050 1D421D6E
	v_mfma_f32_16x16x32_fp8_fp8 v[96:99], a[112:113], a[8:9], v[96:99]// 000000004174: D3F30060 1D821170
	v_mfma_f32_16x16x32_fp8_fp8 v[96:99], a[114:115], a[10:11], v[96:99]// 00000000417C: D3F30060 1D821572
	buffer_load_dwordx4 a[88:91], v57, s[24:27], 0 offen       // 000000004184: E05C1000 80865839
	v_mfma_f32_16x16x32_fp8_fp8 v[96:99], a[116:117], a[12:13], v[96:99]// 00000000418C: D3F30060 1D821974
	v_mfma_f32_16x16x32_fp8_fp8 v[96:99], a[118:119], a[14:15], v[96:99]// 000000004194: D3F30060 1D821D76
	v_mfma_f32_16x16x32_fp8_fp8 v[112:115], a[120:121], a[8:9], v[112:115]// 00000000419C: D3F30070 1DC21178
	v_mfma_f32_16x16x32_fp8_fp8 v[112:115], a[122:123], a[10:11], v[112:115]// 0000000041A4: D3F30070 1DC2157A
	buffer_load_dwordx4 a[92:95], v57, s[24:27], 0 offen offset:1024// 0000000041AC: E05C1400 80865C39
	buffer_load_dword v46, s[20:23], 0 offen lds               // 0000000041B4: E0511000 8005002E
	s_add_u32 m0, 0x100, s49                                   // 0000000041BC: 807C31FF 00000100
	v_mfma_f32_16x16x32_fp8_fp8 v[112:115], a[124:125], a[12:13], v[112:115]// 0000000041C4: D3F30070 1DC2197C
	v_mfma_f32_16x16x32_fp8_fp8 v[112:115], a[126:127], a[14:15], v[112:115]// 0000000041CC: D3F30070 1DC21D7E
	buffer_load_dword v47, s[20:23], 0 offen lds               // 0000000041D4: E0511000 8005002F
	s_add_u32 m0, 0x200, s49                                   // 0000000041DC: 807C31FF 00000200
	v_mfma_f32_16x16x32_fp8_fp8 v[68:71], a[96:97], a[16:17], v[68:71]// 0000000041E4: D3F30044 1D122160
	v_mfma_f32_16x16x32_fp8_fp8 v[68:71], a[98:99], a[18:19], v[68:71]// 0000000041EC: D3F30044 1D122562
	buffer_load_dword v48, s[20:23], 0 offen lds               // 0000000041F4: E0511000 80050030
	s_add_u32 m0, 0x300, s49                                   // 0000000041FC: 807C31FF 00000300
	v_mfma_f32_16x16x32_fp8_fp8 v[68:71], a[100:101], a[20:21], v[68:71]// 000000004204: D3F30044 1D122964
	v_mfma_f32_16x16x32_fp8_fp8 v[68:71], a[102:103], a[22:23], v[68:71]// 00000000420C: D3F30044 1D122D66
	buffer_load_dword v49, s[20:23], 0 offen lds               // 000000004214: E0511000 80050031
	s_add_u32 m0, 0x400, s49                                   // 00000000421C: 807C31FF 00000400
	v_mfma_f32_16x16x32_fp8_fp8 v[84:87], a[104:105], a[16:17], v[84:87]// 000000004224: D3F30054 1D522168
	v_mfma_f32_16x16x32_fp8_fp8 v[84:87], a[106:107], a[18:19], v[84:87]// 00000000422C: D3F30054 1D52256A
	buffer_load_dword v50, s[20:23], 0 offen lds               // 000000004234: E0511000 80050032
	s_add_u32 m0, 0x500, s49                                   // 00000000423C: 807C31FF 00000500
	v_mfma_f32_16x16x32_fp8_fp8 v[84:87], a[108:109], a[20:21], v[84:87]// 000000004244: D3F30054 1D52296C
	v_mfma_f32_16x16x32_fp8_fp8 v[84:87], a[110:111], a[22:23], v[84:87]// 00000000424C: D3F30054 1D522D6E
	buffer_load_dword v51, s[20:23], 0 offen lds               // 000000004254: E0511000 80050033
	s_add_u32 m0, 0x600, s49                                   // 00000000425C: 807C31FF 00000600
	v_mfma_f32_16x16x32_fp8_fp8 v[100:103], a[112:113], a[16:17], v[100:103]// 000000004264: D3F30064 1D922170
	v_mfma_f32_16x16x32_fp8_fp8 v[100:103], a[114:115], a[18:19], v[100:103]// 00000000426C: D3F30064 1D922572
	buffer_load_dword v52, s[20:23], 0 offen lds               // 000000004274: E0511000 80050034
	s_add_u32 m0, 0x700, s49                                   // 00000000427C: 807C31FF 00000700
	v_mfma_f32_16x16x32_fp8_fp8 v[100:103], a[116:117], a[20:21], v[100:103]// 000000004284: D3F30064 1D922974
	v_mfma_f32_16x16x32_fp8_fp8 v[100:103], a[118:119], a[22:23], v[100:103]// 00000000428C: D3F30064 1D922D76
	buffer_load_dword v53, s[20:23], 0 offen lds               // 000000004294: E0511000 80050035
	s_add_u32 m0, 0, s50                                       // 00000000429C: 807C3280
	v_mfma_f32_16x16x32_fp8_fp8 v[116:119], a[120:121], a[16:17], v[116:119]// 0000000042A0: D3F30074 1DD22178
	v_mfma_f32_16x16x32_fp8_fp8 v[116:119], a[122:123], a[18:19], v[116:119]// 0000000042A8: D3F30074 1DD2257A
	v_mfma_f32_16x16x32_fp8_fp8 v[116:119], a[124:125], a[20:21], v[116:119]// 0000000042B0: D3F30074 1DD2297C
	v_mfma_f32_16x16x32_fp8_fp8 v[116:119], a[126:127], a[22:23], v[116:119]// 0000000042B8: D3F30074 1DD22D7E
	v_mfma_f32_16x16x32_fp8_fp8 v[72:75], a[96:97], a[24:25], v[72:75]// 0000000042C0: D3F30048 1D223160
	v_mfma_f32_16x16x32_fp8_fp8 v[72:75], a[98:99], a[26:27], v[72:75]// 0000000042C8: D3F30048 1D223562
	v_mfma_f32_16x16x32_fp8_fp8 v[72:75], a[100:101], a[28:29], v[72:75]// 0000000042D0: D3F30048 1D223964
	v_mfma_f32_16x16x32_fp8_fp8 v[72:75], a[102:103], a[30:31], v[72:75]// 0000000042D8: D3F30048 1D223D66
	v_mfma_f32_16x16x32_fp8_fp8 v[88:91], a[104:105], a[24:25], v[88:91]// 0000000042E0: D3F30058 1D623168
	v_mfma_f32_16x16x32_fp8_fp8 v[88:91], a[106:107], a[26:27], v[88:91]// 0000000042E8: D3F30058 1D62356A
	v_mfma_f32_16x16x32_fp8_fp8 v[88:91], a[108:109], a[28:29], v[88:91]// 0000000042F0: D3F30058 1D62396C
	v_mfma_f32_16x16x32_fp8_fp8 v[88:91], a[110:111], a[30:31], v[88:91]// 0000000042F8: D3F30058 1D623D6E
	v_mfma_f32_16x16x32_fp8_fp8 v[104:107], a[112:113], a[24:25], v[104:107]// 000000004300: D3F30068 1DA23170
	v_mfma_f32_16x16x32_fp8_fp8 v[104:107], a[114:115], a[26:27], v[104:107]// 000000004308: D3F30068 1DA23572
	v_mfma_f32_16x16x32_fp8_fp8 v[104:107], a[116:117], a[28:29], v[104:107]// 000000004310: D3F30068 1DA23974
	v_mfma_f32_16x16x32_fp8_fp8 v[104:107], a[118:119], a[30:31], v[104:107]// 000000004318: D3F30068 1DA23D76
	v_mfma_f32_16x16x32_fp8_fp8 v[120:123], a[120:121], a[24:25], v[120:123]// 000000004320: D3F30078 1DE23178
	v_mfma_f32_16x16x32_fp8_fp8 v[120:123], a[122:123], a[26:27], v[120:123]// 000000004328: D3F30078 1DE2357A
	v_mfma_f32_16x16x32_fp8_fp8 v[120:123], a[124:125], a[28:29], v[120:123]// 000000004330: D3F30078 1DE2397C
	v_mfma_f32_16x16x32_fp8_fp8 v[120:123], a[126:127], a[30:31], v[120:123]// 000000004338: D3F30078 1DE23D7E
	s_waitcnt vmcnt(16)                                        // 000000004340: BF8C4F70
	s_barrier                                                  // 000000004344: BF8A0000
	v_mfma_f32_16x16x32_fp8_fp8 v[124:127], a[128:129], a[0:1], v[124:127]// 000000004348: D3F3007C 1DF20180
	v_mfma_f32_16x16x32_fp8_fp8 v[124:127], a[130:131], a[2:3], v[124:127]// 000000004350: D3F3007C 1DF20582
	buffer_load_dwordx4 a[96:99], v54, s[84:87], 0 offen       // 000000004358: E05C1000 80956036
	v_mfma_f32_16x16x32_fp8_fp8 v[124:127], a[132:133], a[4:5], v[124:127]// 000000004360: D3F3007C 1DF20984
	v_mfma_f32_16x16x32_fp8_fp8 v[124:127], a[134:135], a[6:7], v[124:127]// 000000004368: D3F3007C 1DF20D86
	ds_read_b128 a[32:35], v2                                  // 000000004370: DBFE0000 20000002
	ds_read_b128 a[36:39], v2 offset:64                        // 000000004378: DBFE0040 24000002
	v_mfma_f32_16x16x32_fp8_fp8 v[140:143], a[136:137], a[0:1], v[140:143]// 000000004380: D3F3008C 1E320188
	v_mfma_f32_16x16x32_fp8_fp8 v[140:143], a[138:139], a[2:3], v[140:143]// 000000004388: D3F3008C 1E32058A
	buffer_load_dwordx4 a[100:103], v54, s[84:87], 0 offen offset:1024// 000000004390: E05C1400 80956436
	v_mfma_f32_16x16x32_fp8_fp8 v[140:143], a[140:141], a[4:5], v[140:143]// 000000004398: D3F3008C 1E32098C
	v_mfma_f32_16x16x32_fp8_fp8 v[140:143], a[142:143], a[6:7], v[140:143]// 0000000043A0: D3F3008C 1E320D8E
	ds_read_b128 a[40:43], v2 offset:512                       // 0000000043A8: DBFE0200 28000002
	ds_read_b128 a[44:47], v2 offset:576                       // 0000000043B0: DBFE0240 2C000002
	v_mfma_f32_16x16x32_fp8_fp8 v[156:159], a[144:145], a[0:1], v[156:159]// 0000000043B8: D3F3009C 1E720190
	v_mfma_f32_16x16x32_fp8_fp8 v[156:159], a[146:147], a[2:3], v[156:159]// 0000000043C0: D3F3009C 1E720592
	buffer_load_dwordx4 a[104:107], v55, s[84:87], 0 offen     // 0000000043C8: E05C1000 80956837
	v_mfma_f32_16x16x32_fp8_fp8 v[156:159], a[148:149], a[4:5], v[156:159]// 0000000043D0: D3F3009C 1E720994
	v_mfma_f32_16x16x32_fp8_fp8 v[156:159], a[150:151], a[6:7], v[156:159]// 0000000043D8: D3F3009C 1E720D96
	ds_read_b128 a[48:51], v2 offset:1024                      // 0000000043E0: DBFE0400 30000002
	ds_read_b128 a[52:55], v2 offset:1088                      // 0000000043E8: DBFE0440 34000002
	v_mfma_f32_16x16x32_fp8_fp8 v[172:175], a[152:153], a[0:1], v[172:175]// 0000000043F0: D3F300AC 1EB20198
	v_mfma_f32_16x16x32_fp8_fp8 v[172:175], a[154:155], a[2:3], v[172:175]// 0000000043F8: D3F300AC 1EB2059A
	buffer_load_dwordx4 a[108:111], v55, s[84:87], 0 offen offset:1024// 000000004400: E05C1400 80956C37
	v_mfma_f32_16x16x32_fp8_fp8 v[172:175], a[156:157], a[4:5], v[172:175]// 000000004408: D3F300AC 1EB2099C
	v_mfma_f32_16x16x32_fp8_fp8 v[172:175], a[158:159], a[6:7], v[172:175]// 000000004410: D3F300AC 1EB20D9E
	ds_read_b128 a[56:59], v2 offset:1536                      // 000000004418: DBFE0600 38000002
	ds_read_b128 a[60:63], v2 offset:1600                      // 000000004420: DBFE0640 3C000002
	v_mfma_f32_16x16x32_fp8_fp8 v[128:131], a[128:129], a[8:9], v[128:131]// 000000004428: D3F30080 1E021180
	v_mfma_f32_16x16x32_fp8_fp8 v[128:131], a[130:131], a[10:11], v[128:131]// 000000004430: D3F30080 1E021582
	buffer_load_dwordx4 a[112:115], v56, s[84:87], 0 offen     // 000000004438: E05C1000 80957038
	v_mfma_f32_16x16x32_fp8_fp8 v[128:131], a[132:133], a[12:13], v[128:131]// 000000004440: D3F30080 1E021984
	v_mfma_f32_16x16x32_fp8_fp8 v[128:131], a[134:135], a[14:15], v[128:131]// 000000004448: D3F30080 1E021D86
	v_mfma_f32_16x16x32_fp8_fp8 v[144:147], a[136:137], a[8:9], v[144:147]// 000000004450: D3F30090 1E421188
	v_mfma_f32_16x16x32_fp8_fp8 v[144:147], a[138:139], a[10:11], v[144:147]// 000000004458: D3F30090 1E42158A
	buffer_load_dwordx4 a[116:119], v56, s[84:87], 0 offen offset:1024// 000000004460: E05C1400 80957438
	v_mfma_f32_16x16x32_fp8_fp8 v[144:147], a[140:141], a[12:13], v[144:147]// 000000004468: D3F30090 1E42198C
	v_mfma_f32_16x16x32_fp8_fp8 v[144:147], a[142:143], a[14:15], v[144:147]// 000000004470: D3F30090 1E421D8E
	v_mfma_f32_16x16x32_fp8_fp8 v[160:163], a[144:145], a[8:9], v[160:163]// 000000004478: D3F300A0 1E821190
	v_mfma_f32_16x16x32_fp8_fp8 v[160:163], a[146:147], a[10:11], v[160:163]// 000000004480: D3F300A0 1E821592
	buffer_load_dwordx4 a[120:123], v57, s[84:87], 0 offen     // 000000004488: E05C1000 80957839
	v_mfma_f32_16x16x32_fp8_fp8 v[160:163], a[148:149], a[12:13], v[160:163]// 000000004490: D3F300A0 1E821994
	v_mfma_f32_16x16x32_fp8_fp8 v[160:163], a[150:151], a[14:15], v[160:163]// 000000004498: D3F300A0 1E821D96
	v_mfma_f32_16x16x32_fp8_fp8 v[176:179], a[152:153], a[8:9], v[176:179]// 0000000044A0: D3F300B0 1EC21198
	v_mfma_f32_16x16x32_fp8_fp8 v[176:179], a[154:155], a[10:11], v[176:179]// 0000000044A8: D3F300B0 1EC2159A
	buffer_load_dwordx4 a[124:127], v57, s[84:87], 0 offen offset:1024// 0000000044B0: E05C1400 80957C39
	v_mfma_f32_16x16x32_fp8_fp8 v[176:179], a[156:157], a[12:13], v[176:179]// 0000000044B8: D3F300B0 1EC2199C
	v_mfma_f32_16x16x32_fp8_fp8 v[176:179], a[158:159], a[14:15], v[176:179]// 0000000044C0: D3F300B0 1EC21D9E
	v_mfma_f32_16x16x32_fp8_fp8 v[132:135], a[128:129], a[16:17], v[132:135]// 0000000044C8: D3F30084 1E122180
	v_mfma_f32_16x16x32_fp8_fp8 v[132:135], a[130:131], a[18:19], v[132:135]// 0000000044D0: D3F30084 1E122582
	v_mfma_f32_16x16x32_fp8_fp8 v[132:135], a[132:133], a[20:21], v[132:135]// 0000000044D8: D3F30084 1E122984
	v_mfma_f32_16x16x32_fp8_fp8 v[132:135], a[134:135], a[22:23], v[132:135]// 0000000044E0: D3F30084 1E122D86
	v_mfma_f32_16x16x32_fp8_fp8 v[148:151], a[136:137], a[16:17], v[148:151]// 0000000044E8: D3F30094 1E522188
	v_mfma_f32_16x16x32_fp8_fp8 v[148:151], a[138:139], a[18:19], v[148:151]// 0000000044F0: D3F30094 1E52258A
	v_mfma_f32_16x16x32_fp8_fp8 v[148:151], a[140:141], a[20:21], v[148:151]// 0000000044F8: D3F30094 1E52298C
	v_mfma_f32_16x16x32_fp8_fp8 v[148:151], a[142:143], a[22:23], v[148:151]// 000000004500: D3F30094 1E522D8E
	v_mfma_f32_16x16x32_fp8_fp8 v[164:167], a[144:145], a[16:17], v[164:167]// 000000004508: D3F300A4 1E922190
	v_mfma_f32_16x16x32_fp8_fp8 v[164:167], a[146:147], a[18:19], v[164:167]// 000000004510: D3F300A4 1E922592
	v_mfma_f32_16x16x32_fp8_fp8 v[164:167], a[148:149], a[20:21], v[164:167]// 000000004518: D3F300A4 1E922994
	v_mfma_f32_16x16x32_fp8_fp8 v[164:167], a[150:151], a[22:23], v[164:167]// 000000004520: D3F300A4 1E922D96
	v_mfma_f32_16x16x32_fp8_fp8 v[180:183], a[152:153], a[16:17], v[180:183]// 000000004528: D3F300B4 1ED22198
	v_mfma_f32_16x16x32_fp8_fp8 v[180:183], a[154:155], a[18:19], v[180:183]// 000000004530: D3F300B4 1ED2259A
	v_mfma_f32_16x16x32_fp8_fp8 v[180:183], a[156:157], a[20:21], v[180:183]// 000000004538: D3F300B4 1ED2299C
	v_mfma_f32_16x16x32_fp8_fp8 v[180:183], a[158:159], a[22:23], v[180:183]// 000000004540: D3F300B4 1ED22D9E
	v_mfma_f32_16x16x32_fp8_fp8 v[136:139], a[128:129], a[24:25], v[136:139]// 000000004548: D3F30088 1E223180
	v_mfma_f32_16x16x32_fp8_fp8 v[136:139], a[130:131], a[26:27], v[136:139]// 000000004550: D3F30088 1E223582
	v_mfma_f32_16x16x32_fp8_fp8 v[136:139], a[132:133], a[28:29], v[136:139]// 000000004558: D3F30088 1E223984
	v_mfma_f32_16x16x32_fp8_fp8 v[136:139], a[134:135], a[30:31], v[136:139]// 000000004560: D3F30088 1E223D86
	v_mfma_f32_16x16x32_fp8_fp8 v[152:155], a[136:137], a[24:25], v[152:155]// 000000004568: D3F30098 1E623188
	v_mfma_f32_16x16x32_fp8_fp8 v[152:155], a[138:139], a[26:27], v[152:155]// 000000004570: D3F30098 1E62358A
	v_mfma_f32_16x16x32_fp8_fp8 v[152:155], a[140:141], a[28:29], v[152:155]// 000000004578: D3F30098 1E62398C
	v_mfma_f32_16x16x32_fp8_fp8 v[152:155], a[142:143], a[30:31], v[152:155]// 000000004580: D3F30098 1E623D8E
	v_mfma_f32_16x16x32_fp8_fp8 v[168:171], a[144:145], a[24:25], v[168:171]// 000000004588: D3F300A8 1EA23190
	s_add_u32 s60, 0x180, s80                                  // 000000004590: 803C50FF 00000180
	s_cmp_lt_u32 s60, s81                                      // 000000004598: BF0A513C
	s_cselect_b32 s57, s57, 0                                  // 00000000459C: 85398039
	v_mfma_f32_16x16x32_fp8_fp8 v[168:171], a[146:147], a[26:27], v[168:171]// 0000000045A0: D3F300A8 1EA23592
	s_add_u32 s60, 0x100, s80                                  // 0000000045A8: 803C50FF 00000100
	s_cmp_lt_u32 s60, s81                                      // 0000000045B0: BF0A513C
	s_cselect_b32 s58, s58, 0                                  // 0000000045B4: 853A803A
	v_mfma_f32_16x16x32_fp8_fp8 v[168:171], a[148:149], a[28:29], v[168:171]// 0000000045B8: D3F300A8 1EA23994
	s_add_u32 s60, 0x100, s80                                  // 0000000045C0: 803C50FF 00000100
	s_cmp_lt_u32 s60, s81                                      // 0000000045C8: BF0A513C
	s_cselect_b32 s83, s83, 0                                  // 0000000045CC: 85538053
	v_mfma_f32_16x16x32_fp8_fp8 v[168:171], a[150:151], a[30:31], v[168:171]// 0000000045D0: D3F300A8 1EA23D96
	s_add_u32 s24, s58, s24                                    // 0000000045D8: 8018183A
	s_addc_u32 s25, 0, s25                                     // 0000000045DC: 82191980
	v_mfma_f32_16x16x32_fp8_fp8 v[184:187], a[152:153], a[24:25], v[184:187]// 0000000045E0: D3F300B8 1EE23198
	s_add_u32 s20, s57, s20                                    // 0000000045E8: 80141439
	s_addc_u32 s21, 0, s21                                     // 0000000045EC: 82151580
	v_mfma_f32_16x16x32_fp8_fp8 v[184:187], a[154:155], a[26:27], v[184:187]// 0000000045F0: D3F300B8 1EE2359A
	s_add_u32 s84, s83, s84                                    // 0000000045F8: 80545453
	s_addc_u32 s85, 0, s85                                     // 0000000045FC: 82555580
	v_mfma_f32_16x16x32_fp8_fp8 v[184:187], a[156:157], a[28:29], v[184:187]// 000000004600: D3F300B8 1EE2399C
	v_mfma_f32_16x16x32_fp8_fp8 v[184:187], a[158:159], a[30:31], v[184:187]// 000000004608: D3F300B8 1EE23D9E
	s_addk_i32 s80, 0x80                                       // 000000004610: B7500080
	s_cmp_lt_i32 s80, s81                                      // 000000004614: BF045150
	s_cbranch_scc0 label_0B3D                                  // 000000004618: BF840436
	s_waitcnt vmcnt(16) lgkmcnt(0)                             // 00000000461C: BF8C4070
	v_mfma_f32_16x16x32_fp8_fp8 v[60:63], a[64:65], a[32:33], v[60:63]// 000000004620: D3F3003C 1CF24140
	v_mfma_f32_16x16x32_fp8_fp8 v[60:63], a[66:67], a[34:35], v[60:63]// 000000004628: D3F3003C 1CF24542
	buffer_load_dwordx4 a[128:131], v54, s[24:27], 0 offen     // 000000004630: E05C1000 80868036
	v_mfma_f32_16x16x32_fp8_fp8 v[60:63], a[68:69], a[36:37], v[60:63]// 000000004638: D3F3003C 1CF24944
	v_mfma_f32_16x16x32_fp8_fp8 v[60:63], a[70:71], a[38:39], v[60:63]// 000000004640: D3F3003C 1CF24D46
	v_mfma_f32_16x16x32_fp8_fp8 v[76:79], a[72:73], a[32:33], v[76:79]// 000000004648: D3F3004C 1D324148
	v_mfma_f32_16x16x32_fp8_fp8 v[76:79], a[74:75], a[34:35], v[76:79]// 000000004650: D3F3004C 1D32454A
	buffer_load_dwordx4 a[132:135], v54, s[24:27], 0 offen offset:1024// 000000004658: E05C1400 80868436
	v_mfma_f32_16x16x32_fp8_fp8 v[76:79], a[76:77], a[36:37], v[76:79]// 000000004660: D3F3004C 1D32494C
	v_mfma_f32_16x16x32_fp8_fp8 v[76:79], a[78:79], a[38:39], v[76:79]// 000000004668: D3F3004C 1D324D4E
	v_mfma_f32_16x16x32_fp8_fp8 v[92:95], a[80:81], a[32:33], v[92:95]// 000000004670: D3F3005C 1D724150
	v_mfma_f32_16x16x32_fp8_fp8 v[92:95], a[82:83], a[34:35], v[92:95]// 000000004678: D3F3005C 1D724552
	buffer_load_dwordx4 a[136:139], v55, s[24:27], 0 offen     // 000000004680: E05C1000 80868837
	v_mfma_f32_16x16x32_fp8_fp8 v[92:95], a[84:85], a[36:37], v[92:95]// 000000004688: D3F3005C 1D724954
	v_mfma_f32_16x16x32_fp8_fp8 v[92:95], a[86:87], a[38:39], v[92:95]// 000000004690: D3F3005C 1D724D56
	v_mfma_f32_16x16x32_fp8_fp8 v[108:111], a[88:89], a[32:33], v[108:111]// 000000004698: D3F3006C 1DB24158
	v_mfma_f32_16x16x32_fp8_fp8 v[108:111], a[90:91], a[34:35], v[108:111]// 0000000046A0: D3F3006C 1DB2455A
	buffer_load_dwordx4 a[140:143], v55, s[24:27], 0 offen offset:1024// 0000000046A8: E05C1400 80868C37
	v_mfma_f32_16x16x32_fp8_fp8 v[108:111], a[92:93], a[36:37], v[108:111]// 0000000046B0: D3F3006C 1DB2495C
	v_mfma_f32_16x16x32_fp8_fp8 v[108:111], a[94:95], a[38:39], v[108:111]// 0000000046B8: D3F3006C 1DB24D5E
	v_mfma_f32_16x16x32_fp8_fp8 v[64:67], a[64:65], a[40:41], v[64:67]// 0000000046C0: D3F30040 1D025140
	v_mfma_f32_16x16x32_fp8_fp8 v[64:67], a[66:67], a[42:43], v[64:67]// 0000000046C8: D3F30040 1D025542
	buffer_load_dwordx4 a[144:147], v56, s[24:27], 0 offen     // 0000000046D0: E05C1000 80869038
	v_mfma_f32_16x16x32_fp8_fp8 v[64:67], a[68:69], a[44:45], v[64:67]// 0000000046D8: D3F30040 1D025944
	v_mfma_f32_16x16x32_fp8_fp8 v[64:67], a[70:71], a[46:47], v[64:67]// 0000000046E0: D3F30040 1D025D46
	v_mfma_f32_16x16x32_fp8_fp8 v[80:83], a[72:73], a[40:41], v[80:83]// 0000000046E8: D3F30050 1D425148
	v_mfma_f32_16x16x32_fp8_fp8 v[80:83], a[74:75], a[42:43], v[80:83]// 0000000046F0: D3F30050 1D42554A
	buffer_load_dwordx4 a[148:151], v56, s[24:27], 0 offen offset:1024// 0000000046F8: E05C1400 80869438
	v_mfma_f32_16x16x32_fp8_fp8 v[80:83], a[76:77], a[44:45], v[80:83]// 000000004700: D3F30050 1D42594C
	v_mfma_f32_16x16x32_fp8_fp8 v[80:83], a[78:79], a[46:47], v[80:83]// 000000004708: D3F30050 1D425D4E
	v_mfma_f32_16x16x32_fp8_fp8 v[96:99], a[80:81], a[40:41], v[96:99]// 000000004710: D3F30060 1D825150
	v_mfma_f32_16x16x32_fp8_fp8 v[96:99], a[82:83], a[42:43], v[96:99]// 000000004718: D3F30060 1D825552
	buffer_load_dwordx4 a[152:155], v57, s[24:27], 0 offen     // 000000004720: E05C1000 80869839
	v_mfma_f32_16x16x32_fp8_fp8 v[96:99], a[84:85], a[44:45], v[96:99]// 000000004728: D3F30060 1D825954
	v_mfma_f32_16x16x32_fp8_fp8 v[96:99], a[86:87], a[46:47], v[96:99]// 000000004730: D3F30060 1D825D56
	v_mfma_f32_16x16x32_fp8_fp8 v[112:115], a[88:89], a[40:41], v[112:115]// 000000004738: D3F30070 1DC25158
	v_mfma_f32_16x16x32_fp8_fp8 v[112:115], a[90:91], a[42:43], v[112:115]// 000000004740: D3F30070 1DC2555A
	buffer_load_dwordx4 a[156:159], v57, s[24:27], 0 offen offset:1024// 000000004748: E05C1400 80869C39
	buffer_load_dword v46, s[20:23], 0 offen lds               // 000000004750: E0511000 8005002E
	s_add_u32 m0, 0x100, s50                                   // 000000004758: 807C32FF 00000100
	v_mfma_f32_16x16x32_fp8_fp8 v[112:115], a[92:93], a[44:45], v[112:115]// 000000004760: D3F30070 1DC2595C
	v_mfma_f32_16x16x32_fp8_fp8 v[112:115], a[94:95], a[46:47], v[112:115]// 000000004768: D3F30070 1DC25D5E
	buffer_load_dword v47, s[20:23], 0 offen lds               // 000000004770: E0511000 8005002F
	s_add_u32 m0, 0x200, s50                                   // 000000004778: 807C32FF 00000200
	v_mfma_f32_16x16x32_fp8_fp8 v[68:71], a[64:65], a[48:49], v[68:71]// 000000004780: D3F30044 1D126140
	v_mfma_f32_16x16x32_fp8_fp8 v[68:71], a[66:67], a[50:51], v[68:71]// 000000004788: D3F30044 1D126542
	buffer_load_dword v48, s[20:23], 0 offen lds               // 000000004790: E0511000 80050030
	s_add_u32 m0, 0x300, s50                                   // 000000004798: 807C32FF 00000300
	v_mfma_f32_16x16x32_fp8_fp8 v[68:71], a[68:69], a[52:53], v[68:71]// 0000000047A0: D3F30044 1D126944
	v_mfma_f32_16x16x32_fp8_fp8 v[68:71], a[70:71], a[54:55], v[68:71]// 0000000047A8: D3F30044 1D126D46
	buffer_load_dword v49, s[20:23], 0 offen lds               // 0000000047B0: E0511000 80050031
	s_add_u32 m0, 0x400, s50                                   // 0000000047B8: 807C32FF 00000400
	v_mfma_f32_16x16x32_fp8_fp8 v[84:87], a[72:73], a[48:49], v[84:87]// 0000000047C0: D3F30054 1D526148
	v_mfma_f32_16x16x32_fp8_fp8 v[84:87], a[74:75], a[50:51], v[84:87]// 0000000047C8: D3F30054 1D52654A
	buffer_load_dword v50, s[20:23], 0 offen lds               // 0000000047D0: E0511000 80050032
	s_add_u32 m0, 0x500, s50                                   // 0000000047D8: 807C32FF 00000500
	v_mfma_f32_16x16x32_fp8_fp8 v[84:87], a[76:77], a[52:53], v[84:87]// 0000000047E0: D3F30054 1D52694C
	v_mfma_f32_16x16x32_fp8_fp8 v[84:87], a[78:79], a[54:55], v[84:87]// 0000000047E8: D3F30054 1D526D4E
	buffer_load_dword v51, s[20:23], 0 offen lds               // 0000000047F0: E0511000 80050033
	s_add_u32 m0, 0x600, s50                                   // 0000000047F8: 807C32FF 00000600
	v_mfma_f32_16x16x32_fp8_fp8 v[100:103], a[80:81], a[48:49], v[100:103]// 000000004800: D3F30064 1D926150
	v_mfma_f32_16x16x32_fp8_fp8 v[100:103], a[82:83], a[50:51], v[100:103]// 000000004808: D3F30064 1D926552
	buffer_load_dword v52, s[20:23], 0 offen lds               // 000000004810: E0511000 80050034
	s_add_u32 m0, 0x700, s50                                   // 000000004818: 807C32FF 00000700
	v_mfma_f32_16x16x32_fp8_fp8 v[100:103], a[84:85], a[52:53], v[100:103]// 000000004820: D3F30064 1D926954
	v_mfma_f32_16x16x32_fp8_fp8 v[100:103], a[86:87], a[54:55], v[100:103]// 000000004828: D3F30064 1D926D56
	buffer_load_dword v53, s[20:23], 0 offen lds               // 000000004830: E0511000 80050035
	s_add_u32 m0, 0, s48                                       // 000000004838: 807C3080
	v_mfma_f32_16x16x32_fp8_fp8 v[116:119], a[88:89], a[48:49], v[116:119]// 00000000483C: D3F30074 1DD26158
	v_mfma_f32_16x16x32_fp8_fp8 v[116:119], a[90:91], a[50:51], v[116:119]// 000000004844: D3F30074 1DD2655A
	v_mfma_f32_16x16x32_fp8_fp8 v[116:119], a[92:93], a[52:53], v[116:119]// 00000000484C: D3F30074 1DD2695C
	v_mfma_f32_16x16x32_fp8_fp8 v[116:119], a[94:95], a[54:55], v[116:119]// 000000004854: D3F30074 1DD26D5E
	v_mfma_f32_16x16x32_fp8_fp8 v[72:75], a[64:65], a[56:57], v[72:75]// 00000000485C: D3F30048 1D227140
	v_mfma_f32_16x16x32_fp8_fp8 v[72:75], a[66:67], a[58:59], v[72:75]// 000000004864: D3F30048 1D227542
	v_mfma_f32_16x16x32_fp8_fp8 v[72:75], a[68:69], a[60:61], v[72:75]// 00000000486C: D3F30048 1D227944
	v_mfma_f32_16x16x32_fp8_fp8 v[72:75], a[70:71], a[62:63], v[72:75]// 000000004874: D3F30048 1D227D46
	v_mfma_f32_16x16x32_fp8_fp8 v[88:91], a[72:73], a[56:57], v[88:91]// 00000000487C: D3F30058 1D627148
	v_mfma_f32_16x16x32_fp8_fp8 v[88:91], a[74:75], a[58:59], v[88:91]// 000000004884: D3F30058 1D62754A
	v_mfma_f32_16x16x32_fp8_fp8 v[88:91], a[76:77], a[60:61], v[88:91]// 00000000488C: D3F30058 1D62794C
	v_mfma_f32_16x16x32_fp8_fp8 v[88:91], a[78:79], a[62:63], v[88:91]// 000000004894: D3F30058 1D627D4E
	v_mfma_f32_16x16x32_fp8_fp8 v[104:107], a[80:81], a[56:57], v[104:107]// 00000000489C: D3F30068 1DA27150
	v_mfma_f32_16x16x32_fp8_fp8 v[104:107], a[82:83], a[58:59], v[104:107]// 0000000048A4: D3F30068 1DA27552
	v_mfma_f32_16x16x32_fp8_fp8 v[104:107], a[84:85], a[60:61], v[104:107]// 0000000048AC: D3F30068 1DA27954
	v_mfma_f32_16x16x32_fp8_fp8 v[104:107], a[86:87], a[62:63], v[104:107]// 0000000048B4: D3F30068 1DA27D56
	v_mfma_f32_16x16x32_fp8_fp8 v[120:123], a[88:89], a[56:57], v[120:123]// 0000000048BC: D3F30078 1DE27158
	v_mfma_f32_16x16x32_fp8_fp8 v[120:123], a[90:91], a[58:59], v[120:123]// 0000000048C4: D3F30078 1DE2755A
	v_mfma_f32_16x16x32_fp8_fp8 v[120:123], a[92:93], a[60:61], v[120:123]// 0000000048CC: D3F30078 1DE2795C
	v_mfma_f32_16x16x32_fp8_fp8 v[120:123], a[94:95], a[62:63], v[120:123]// 0000000048D4: D3F30078 1DE27D5E
	s_waitcnt vmcnt(16)                                        // 0000000048DC: BF8C4F70
	s_barrier                                                  // 0000000048E0: BF8A0000
	v_mfma_f32_16x16x32_fp8_fp8 v[124:127], a[96:97], a[32:33], v[124:127]// 0000000048E4: D3F3007C 1DF24160
	v_mfma_f32_16x16x32_fp8_fp8 v[124:127], a[98:99], a[34:35], v[124:127]// 0000000048EC: D3F3007C 1DF24562
	buffer_load_dwordx4 a[64:67], v54, s[84:87], 0 offen       // 0000000048F4: E05C1000 80954036
	v_mfma_f32_16x16x32_fp8_fp8 v[124:127], a[100:101], a[36:37], v[124:127]// 0000000048FC: D3F3007C 1DF24964
	v_mfma_f32_16x16x32_fp8_fp8 v[124:127], a[102:103], a[38:39], v[124:127]// 000000004904: D3F3007C 1DF24D66
	ds_read_b128 a[0:3], v2 offset:8320                        // 00000000490C: DBFE2080 00000002
	ds_read_b128 a[4:7], v2 offset:8384                        // 000000004914: DBFE20C0 04000002
	v_mfma_f32_16x16x32_fp8_fp8 v[140:143], a[104:105], a[32:33], v[140:143]// 00000000491C: D3F3008C 1E324168
	v_mfma_f32_16x16x32_fp8_fp8 v[140:143], a[106:107], a[34:35], v[140:143]// 000000004924: D3F3008C 1E32456A
	buffer_load_dwordx4 a[68:71], v54, s[84:87], 0 offen offset:1024// 00000000492C: E05C1400 80954436
	v_mfma_f32_16x16x32_fp8_fp8 v[140:143], a[108:109], a[36:37], v[140:143]// 000000004934: D3F3008C 1E32496C
	v_mfma_f32_16x16x32_fp8_fp8 v[140:143], a[110:111], a[38:39], v[140:143]// 00000000493C: D3F3008C 1E324D6E
	ds_read_b128 a[8:11], v2 offset:8832                       // 000000004944: DBFE2280 08000002
	ds_read_b128 a[12:15], v2 offset:8896                      // 00000000494C: DBFE22C0 0C000002
	v_mfma_f32_16x16x32_fp8_fp8 v[156:159], a[112:113], a[32:33], v[156:159]// 000000004954: D3F3009C 1E724170
	v_mfma_f32_16x16x32_fp8_fp8 v[156:159], a[114:115], a[34:35], v[156:159]// 00000000495C: D3F3009C 1E724572
	buffer_load_dwordx4 a[72:75], v55, s[84:87], 0 offen       // 000000004964: E05C1000 80954837
	v_mfma_f32_16x16x32_fp8_fp8 v[156:159], a[116:117], a[36:37], v[156:159]// 00000000496C: D3F3009C 1E724974
	v_mfma_f32_16x16x32_fp8_fp8 v[156:159], a[118:119], a[38:39], v[156:159]// 000000004974: D3F3009C 1E724D76
	ds_read_b128 a[16:19], v2 offset:9344                      // 00000000497C: DBFE2480 10000002
	ds_read_b128 a[20:23], v2 offset:9408                      // 000000004984: DBFE24C0 14000002
	v_mfma_f32_16x16x32_fp8_fp8 v[172:175], a[120:121], a[32:33], v[172:175]// 00000000498C: D3F300AC 1EB24178
	v_mfma_f32_16x16x32_fp8_fp8 v[172:175], a[122:123], a[34:35], v[172:175]// 000000004994: D3F300AC 1EB2457A
	buffer_load_dwordx4 a[76:79], v55, s[84:87], 0 offen offset:1024// 00000000499C: E05C1400 80954C37
	v_mfma_f32_16x16x32_fp8_fp8 v[172:175], a[124:125], a[36:37], v[172:175]// 0000000049A4: D3F300AC 1EB2497C
	v_mfma_f32_16x16x32_fp8_fp8 v[172:175], a[126:127], a[38:39], v[172:175]// 0000000049AC: D3F300AC 1EB24D7E
	ds_read_b128 a[24:27], v2 offset:9856                      // 0000000049B4: DBFE2680 18000002
	ds_read_b128 a[28:31], v2 offset:9920                      // 0000000049BC: DBFE26C0 1C000002
	v_mfma_f32_16x16x32_fp8_fp8 v[128:131], a[96:97], a[40:41], v[128:131]// 0000000049C4: D3F30080 1E025160
	v_mfma_f32_16x16x32_fp8_fp8 v[128:131], a[98:99], a[42:43], v[128:131]// 0000000049CC: D3F30080 1E025562
	buffer_load_dwordx4 a[80:83], v56, s[84:87], 0 offen       // 0000000049D4: E05C1000 80955038
	v_mfma_f32_16x16x32_fp8_fp8 v[128:131], a[100:101], a[44:45], v[128:131]// 0000000049DC: D3F30080 1E025964
	v_mfma_f32_16x16x32_fp8_fp8 v[128:131], a[102:103], a[46:47], v[128:131]// 0000000049E4: D3F30080 1E025D66
	v_mfma_f32_16x16x32_fp8_fp8 v[144:147], a[104:105], a[40:41], v[144:147]// 0000000049EC: D3F30090 1E425168
	v_mfma_f32_16x16x32_fp8_fp8 v[144:147], a[106:107], a[42:43], v[144:147]// 0000000049F4: D3F30090 1E42556A
	buffer_load_dwordx4 a[84:87], v56, s[84:87], 0 offen offset:1024// 0000000049FC: E05C1400 80955438
	v_mfma_f32_16x16x32_fp8_fp8 v[144:147], a[108:109], a[44:45], v[144:147]// 000000004A04: D3F30090 1E42596C
	v_mfma_f32_16x16x32_fp8_fp8 v[144:147], a[110:111], a[46:47], v[144:147]// 000000004A0C: D3F30090 1E425D6E
	v_mfma_f32_16x16x32_fp8_fp8 v[160:163], a[112:113], a[40:41], v[160:163]// 000000004A14: D3F300A0 1E825170
	v_mfma_f32_16x16x32_fp8_fp8 v[160:163], a[114:115], a[42:43], v[160:163]// 000000004A1C: D3F300A0 1E825572
	buffer_load_dwordx4 a[88:91], v57, s[84:87], 0 offen       // 000000004A24: E05C1000 80955839
	v_mfma_f32_16x16x32_fp8_fp8 v[160:163], a[116:117], a[44:45], v[160:163]// 000000004A2C: D3F300A0 1E825974
	v_mfma_f32_16x16x32_fp8_fp8 v[160:163], a[118:119], a[46:47], v[160:163]// 000000004A34: D3F300A0 1E825D76
	v_mfma_f32_16x16x32_fp8_fp8 v[176:179], a[120:121], a[40:41], v[176:179]// 000000004A3C: D3F300B0 1EC25178
	v_mfma_f32_16x16x32_fp8_fp8 v[176:179], a[122:123], a[42:43], v[176:179]// 000000004A44: D3F300B0 1EC2557A
	buffer_load_dwordx4 a[92:95], v57, s[84:87], 0 offen offset:1024// 000000004A4C: E05C1400 80955C39
	v_mfma_f32_16x16x32_fp8_fp8 v[176:179], a[124:125], a[44:45], v[176:179]// 000000004A54: D3F300B0 1EC2597C
	v_mfma_f32_16x16x32_fp8_fp8 v[176:179], a[126:127], a[46:47], v[176:179]// 000000004A5C: D3F300B0 1EC25D7E
	v_mfma_f32_16x16x32_fp8_fp8 v[132:135], a[96:97], a[48:49], v[132:135]// 000000004A64: D3F30084 1E126160
	v_mfma_f32_16x16x32_fp8_fp8 v[132:135], a[98:99], a[50:51], v[132:135]// 000000004A6C: D3F30084 1E126562
	v_mfma_f32_16x16x32_fp8_fp8 v[132:135], a[100:101], a[52:53], v[132:135]// 000000004A74: D3F30084 1E126964
	v_mfma_f32_16x16x32_fp8_fp8 v[132:135], a[102:103], a[54:55], v[132:135]// 000000004A7C: D3F30084 1E126D66
	v_mfma_f32_16x16x32_fp8_fp8 v[148:151], a[104:105], a[48:49], v[148:151]// 000000004A84: D3F30094 1E526168
	v_mfma_f32_16x16x32_fp8_fp8 v[148:151], a[106:107], a[50:51], v[148:151]// 000000004A8C: D3F30094 1E52656A
	v_mfma_f32_16x16x32_fp8_fp8 v[148:151], a[108:109], a[52:53], v[148:151]// 000000004A94: D3F30094 1E52696C
	v_mfma_f32_16x16x32_fp8_fp8 v[148:151], a[110:111], a[54:55], v[148:151]// 000000004A9C: D3F30094 1E526D6E
	v_mfma_f32_16x16x32_fp8_fp8 v[164:167], a[112:113], a[48:49], v[164:167]// 000000004AA4: D3F300A4 1E926170
	v_mfma_f32_16x16x32_fp8_fp8 v[164:167], a[114:115], a[50:51], v[164:167]// 000000004AAC: D3F300A4 1E926572
	v_mfma_f32_16x16x32_fp8_fp8 v[164:167], a[116:117], a[52:53], v[164:167]// 000000004AB4: D3F300A4 1E926974
	v_mfma_f32_16x16x32_fp8_fp8 v[164:167], a[118:119], a[54:55], v[164:167]// 000000004ABC: D3F300A4 1E926D76
	v_mfma_f32_16x16x32_fp8_fp8 v[180:183], a[120:121], a[48:49], v[180:183]// 000000004AC4: D3F300B4 1ED26178
	v_mfma_f32_16x16x32_fp8_fp8 v[180:183], a[122:123], a[50:51], v[180:183]// 000000004ACC: D3F300B4 1ED2657A
	v_mfma_f32_16x16x32_fp8_fp8 v[180:183], a[124:125], a[52:53], v[180:183]// 000000004AD4: D3F300B4 1ED2697C
	v_mfma_f32_16x16x32_fp8_fp8 v[180:183], a[126:127], a[54:55], v[180:183]// 000000004ADC: D3F300B4 1ED26D7E
	v_mfma_f32_16x16x32_fp8_fp8 v[136:139], a[96:97], a[56:57], v[136:139]// 000000004AE4: D3F30088 1E227160
	v_mfma_f32_16x16x32_fp8_fp8 v[136:139], a[98:99], a[58:59], v[136:139]// 000000004AEC: D3F30088 1E227562
	v_mfma_f32_16x16x32_fp8_fp8 v[136:139], a[100:101], a[60:61], v[136:139]// 000000004AF4: D3F30088 1E227964
	v_mfma_f32_16x16x32_fp8_fp8 v[136:139], a[102:103], a[62:63], v[136:139]// 000000004AFC: D3F30088 1E227D66
	v_mfma_f32_16x16x32_fp8_fp8 v[152:155], a[104:105], a[56:57], v[152:155]// 000000004B04: D3F30098 1E627168
	v_mfma_f32_16x16x32_fp8_fp8 v[152:155], a[106:107], a[58:59], v[152:155]// 000000004B0C: D3F30098 1E62756A
	v_mfma_f32_16x16x32_fp8_fp8 v[152:155], a[108:109], a[60:61], v[152:155]// 000000004B14: D3F30098 1E62796C
	v_mfma_f32_16x16x32_fp8_fp8 v[152:155], a[110:111], a[62:63], v[152:155]// 000000004B1C: D3F30098 1E627D6E
	v_mfma_f32_16x16x32_fp8_fp8 v[168:171], a[112:113], a[56:57], v[168:171]// 000000004B24: D3F300A8 1EA27170
	s_add_u32 s60, 0x180, s80                                  // 000000004B2C: 803C50FF 00000180
	s_cmp_lt_u32 s60, s81                                      // 000000004B34: BF0A513C
	s_cselect_b32 s57, s57, 0                                  // 000000004B38: 85398039
	v_mfma_f32_16x16x32_fp8_fp8 v[168:171], a[114:115], a[58:59], v[168:171]// 000000004B3C: D3F300A8 1EA27572
	s_add_u32 s60, 0x100, s80                                  // 000000004B44: 803C50FF 00000100
	s_cmp_lt_u32 s60, s81                                      // 000000004B4C: BF0A513C
	s_cselect_b32 s58, s58, 0                                  // 000000004B50: 853A803A
	v_mfma_f32_16x16x32_fp8_fp8 v[168:171], a[116:117], a[60:61], v[168:171]// 000000004B54: D3F300A8 1EA27974
	s_add_u32 s60, 0x100, s80                                  // 000000004B5C: 803C50FF 00000100
	s_cmp_lt_u32 s60, s81                                      // 000000004B64: BF0A513C
	s_cselect_b32 s83, s83, 0                                  // 000000004B68: 85538053
	v_mfma_f32_16x16x32_fp8_fp8 v[168:171], a[118:119], a[62:63], v[168:171]// 000000004B6C: D3F300A8 1EA27D76
	s_add_u32 s24, s58, s24                                    // 000000004B74: 8018183A
	s_addc_u32 s25, 0, s25                                     // 000000004B78: 82191980
	v_mfma_f32_16x16x32_fp8_fp8 v[184:187], a[120:121], a[56:57], v[184:187]// 000000004B7C: D3F300B8 1EE27178
	s_add_u32 s20, s57, s20                                    // 000000004B84: 80141439
	s_addc_u32 s21, 0, s21                                     // 000000004B88: 82151580
	v_mfma_f32_16x16x32_fp8_fp8 v[184:187], a[122:123], a[58:59], v[184:187]// 000000004B8C: D3F300B8 1EE2757A
	s_add_u32 s84, s83, s84                                    // 000000004B94: 80545453
	s_addc_u32 s85, 0, s85                                     // 000000004B98: 82555580
	v_mfma_f32_16x16x32_fp8_fp8 v[184:187], a[124:125], a[60:61], v[184:187]// 000000004B9C: D3F300B8 1EE2797C
	v_mfma_f32_16x16x32_fp8_fp8 v[184:187], a[126:127], a[62:63], v[184:187]// 000000004BA4: D3F300B8 1EE27D7E
	s_addk_i32 s80, 0x80                                       // 000000004BAC: B7500080
	s_cmp_lt_i32 s80, s81                                      // 000000004BB0: BF045150
	s_cbranch_scc0 label_0B3D                                  // 000000004BB4: BF8402CF
	s_waitcnt vmcnt(16) lgkmcnt(0)                             // 000000004BB8: BF8C4070
	v_mfma_f32_16x16x32_fp8_fp8 v[60:63], a[128:129], a[0:1], v[60:63]// 000000004BBC: D3F3003C 1CF20180
	v_mfma_f32_16x16x32_fp8_fp8 v[60:63], a[130:131], a[2:3], v[60:63]// 000000004BC4: D3F3003C 1CF20582
	buffer_load_dwordx4 a[96:99], v54, s[24:27], 0 offen       // 000000004BCC: E05C1000 80866036
	v_mfma_f32_16x16x32_fp8_fp8 v[60:63], a[132:133], a[4:5], v[60:63]// 000000004BD4: D3F3003C 1CF20984
	v_mfma_f32_16x16x32_fp8_fp8 v[60:63], a[134:135], a[6:7], v[60:63]// 000000004BDC: D3F3003C 1CF20D86
	v_mfma_f32_16x16x32_fp8_fp8 v[76:79], a[136:137], a[0:1], v[76:79]// 000000004BE4: D3F3004C 1D320188
	v_mfma_f32_16x16x32_fp8_fp8 v[76:79], a[138:139], a[2:3], v[76:79]// 000000004BEC: D3F3004C 1D32058A
	buffer_load_dwordx4 a[100:103], v54, s[24:27], 0 offen offset:1024// 000000004BF4: E05C1400 80866436
	v_mfma_f32_16x16x32_fp8_fp8 v[76:79], a[140:141], a[4:5], v[76:79]// 000000004BFC: D3F3004C 1D32098C
	v_mfma_f32_16x16x32_fp8_fp8 v[76:79], a[142:143], a[6:7], v[76:79]// 000000004C04: D3F3004C 1D320D8E
	v_mfma_f32_16x16x32_fp8_fp8 v[92:95], a[144:145], a[0:1], v[92:95]// 000000004C0C: D3F3005C 1D720190
	v_mfma_f32_16x16x32_fp8_fp8 v[92:95], a[146:147], a[2:3], v[92:95]// 000000004C14: D3F3005C 1D720592
	buffer_load_dwordx4 a[104:107], v55, s[24:27], 0 offen     // 000000004C1C: E05C1000 80866837
	v_mfma_f32_16x16x32_fp8_fp8 v[92:95], a[148:149], a[4:5], v[92:95]// 000000004C24: D3F3005C 1D720994
	v_mfma_f32_16x16x32_fp8_fp8 v[92:95], a[150:151], a[6:7], v[92:95]// 000000004C2C: D3F3005C 1D720D96
	v_mfma_f32_16x16x32_fp8_fp8 v[108:111], a[152:153], a[0:1], v[108:111]// 000000004C34: D3F3006C 1DB20198
	v_mfma_f32_16x16x32_fp8_fp8 v[108:111], a[154:155], a[2:3], v[108:111]// 000000004C3C: D3F3006C 1DB2059A
	buffer_load_dwordx4 a[108:111], v55, s[24:27], 0 offen offset:1024// 000000004C44: E05C1400 80866C37
	v_mfma_f32_16x16x32_fp8_fp8 v[108:111], a[156:157], a[4:5], v[108:111]// 000000004C4C: D3F3006C 1DB2099C
	v_mfma_f32_16x16x32_fp8_fp8 v[108:111], a[158:159], a[6:7], v[108:111]// 000000004C54: D3F3006C 1DB20D9E
	v_mfma_f32_16x16x32_fp8_fp8 v[64:67], a[128:129], a[8:9], v[64:67]// 000000004C5C: D3F30040 1D021180
	v_mfma_f32_16x16x32_fp8_fp8 v[64:67], a[130:131], a[10:11], v[64:67]// 000000004C64: D3F30040 1D021582
	buffer_load_dwordx4 a[112:115], v56, s[24:27], 0 offen     // 000000004C6C: E05C1000 80867038
	v_mfma_f32_16x16x32_fp8_fp8 v[64:67], a[132:133], a[12:13], v[64:67]// 000000004C74: D3F30040 1D021984
	v_mfma_f32_16x16x32_fp8_fp8 v[64:67], a[134:135], a[14:15], v[64:67]// 000000004C7C: D3F30040 1D021D86
	v_mfma_f32_16x16x32_fp8_fp8 v[80:83], a[136:137], a[8:9], v[80:83]// 000000004C84: D3F30050 1D421188
	v_mfma_f32_16x16x32_fp8_fp8 v[80:83], a[138:139], a[10:11], v[80:83]// 000000004C8C: D3F30050 1D42158A
	buffer_load_dwordx4 a[116:119], v56, s[24:27], 0 offen offset:1024// 000000004C94: E05C1400 80867438
	v_mfma_f32_16x16x32_fp8_fp8 v[80:83], a[140:141], a[12:13], v[80:83]// 000000004C9C: D3F30050 1D42198C
	v_mfma_f32_16x16x32_fp8_fp8 v[80:83], a[142:143], a[14:15], v[80:83]// 000000004CA4: D3F30050 1D421D8E
	v_mfma_f32_16x16x32_fp8_fp8 v[96:99], a[144:145], a[8:9], v[96:99]// 000000004CAC: D3F30060 1D821190
	v_mfma_f32_16x16x32_fp8_fp8 v[96:99], a[146:147], a[10:11], v[96:99]// 000000004CB4: D3F30060 1D821592
	buffer_load_dwordx4 a[120:123], v57, s[24:27], 0 offen     // 000000004CBC: E05C1000 80867839
	v_mfma_f32_16x16x32_fp8_fp8 v[96:99], a[148:149], a[12:13], v[96:99]// 000000004CC4: D3F30060 1D821994
	v_mfma_f32_16x16x32_fp8_fp8 v[96:99], a[150:151], a[14:15], v[96:99]// 000000004CCC: D3F30060 1D821D96
	v_mfma_f32_16x16x32_fp8_fp8 v[112:115], a[152:153], a[8:9], v[112:115]// 000000004CD4: D3F30070 1DC21198
	v_mfma_f32_16x16x32_fp8_fp8 v[112:115], a[154:155], a[10:11], v[112:115]// 000000004CDC: D3F30070 1DC2159A
	buffer_load_dwordx4 a[124:127], v57, s[24:27], 0 offen offset:1024// 000000004CE4: E05C1400 80867C39
	buffer_load_dword v46, s[20:23], 0 offen lds               // 000000004CEC: E0511000 8005002E
	s_add_u32 m0, 0x100, s48                                   // 000000004CF4: 807C30FF 00000100
	v_mfma_f32_16x16x32_fp8_fp8 v[112:115], a[156:157], a[12:13], v[112:115]// 000000004CFC: D3F30070 1DC2199C
	v_mfma_f32_16x16x32_fp8_fp8 v[112:115], a[158:159], a[14:15], v[112:115]// 000000004D04: D3F30070 1DC21D9E
	buffer_load_dword v47, s[20:23], 0 offen lds               // 000000004D0C: E0511000 8005002F
	s_add_u32 m0, 0x200, s48                                   // 000000004D14: 807C30FF 00000200
	v_mfma_f32_16x16x32_fp8_fp8 v[68:71], a[128:129], a[16:17], v[68:71]// 000000004D1C: D3F30044 1D122180
	v_mfma_f32_16x16x32_fp8_fp8 v[68:71], a[130:131], a[18:19], v[68:71]// 000000004D24: D3F30044 1D122582
	buffer_load_dword v48, s[20:23], 0 offen lds               // 000000004D2C: E0511000 80050030
	s_add_u32 m0, 0x300, s48                                   // 000000004D34: 807C30FF 00000300
	v_mfma_f32_16x16x32_fp8_fp8 v[68:71], a[132:133], a[20:21], v[68:71]// 000000004D3C: D3F30044 1D122984
	v_mfma_f32_16x16x32_fp8_fp8 v[68:71], a[134:135], a[22:23], v[68:71]// 000000004D44: D3F30044 1D122D86
	buffer_load_dword v49, s[20:23], 0 offen lds               // 000000004D4C: E0511000 80050031
	s_add_u32 m0, 0x400, s48                                   // 000000004D54: 807C30FF 00000400
	v_mfma_f32_16x16x32_fp8_fp8 v[84:87], a[136:137], a[16:17], v[84:87]// 000000004D5C: D3F30054 1D522188
	v_mfma_f32_16x16x32_fp8_fp8 v[84:87], a[138:139], a[18:19], v[84:87]// 000000004D64: D3F30054 1D52258A
	buffer_load_dword v50, s[20:23], 0 offen lds               // 000000004D6C: E0511000 80050032
	s_add_u32 m0, 0x500, s48                                   // 000000004D74: 807C30FF 00000500
	v_mfma_f32_16x16x32_fp8_fp8 v[84:87], a[140:141], a[20:21], v[84:87]// 000000004D7C: D3F30054 1D52298C
	v_mfma_f32_16x16x32_fp8_fp8 v[84:87], a[142:143], a[22:23], v[84:87]// 000000004D84: D3F30054 1D522D8E
	buffer_load_dword v51, s[20:23], 0 offen lds               // 000000004D8C: E0511000 80050033
	s_add_u32 m0, 0x600, s48                                   // 000000004D94: 807C30FF 00000600
	v_mfma_f32_16x16x32_fp8_fp8 v[100:103], a[144:145], a[16:17], v[100:103]// 000000004D9C: D3F30064 1D922190
	v_mfma_f32_16x16x32_fp8_fp8 v[100:103], a[146:147], a[18:19], v[100:103]// 000000004DA4: D3F30064 1D922592
	buffer_load_dword v52, s[20:23], 0 offen lds               // 000000004DAC: E0511000 80050034
	s_add_u32 m0, 0x700, s48                                   // 000000004DB4: 807C30FF 00000700
	v_mfma_f32_16x16x32_fp8_fp8 v[100:103], a[148:149], a[20:21], v[100:103]// 000000004DBC: D3F30064 1D922994
	v_mfma_f32_16x16x32_fp8_fp8 v[100:103], a[150:151], a[22:23], v[100:103]// 000000004DC4: D3F30064 1D922D96
	buffer_load_dword v53, s[20:23], 0 offen lds               // 000000004DCC: E0511000 80050035
	s_add_u32 m0, 0, s49                                       // 000000004DD4: 807C3180
	v_mfma_f32_16x16x32_fp8_fp8 v[116:119], a[152:153], a[16:17], v[116:119]// 000000004DD8: D3F30074 1DD22198
	v_mfma_f32_16x16x32_fp8_fp8 v[116:119], a[154:155], a[18:19], v[116:119]// 000000004DE0: D3F30074 1DD2259A
	v_mfma_f32_16x16x32_fp8_fp8 v[116:119], a[156:157], a[20:21], v[116:119]// 000000004DE8: D3F30074 1DD2299C
	v_mfma_f32_16x16x32_fp8_fp8 v[116:119], a[158:159], a[22:23], v[116:119]// 000000004DF0: D3F30074 1DD22D9E
	v_mfma_f32_16x16x32_fp8_fp8 v[72:75], a[128:129], a[24:25], v[72:75]// 000000004DF8: D3F30048 1D223180
	v_mfma_f32_16x16x32_fp8_fp8 v[72:75], a[130:131], a[26:27], v[72:75]// 000000004E00: D3F30048 1D223582
	v_mfma_f32_16x16x32_fp8_fp8 v[72:75], a[132:133], a[28:29], v[72:75]// 000000004E08: D3F30048 1D223984
	v_mfma_f32_16x16x32_fp8_fp8 v[72:75], a[134:135], a[30:31], v[72:75]// 000000004E10: D3F30048 1D223D86
	v_mfma_f32_16x16x32_fp8_fp8 v[88:91], a[136:137], a[24:25], v[88:91]// 000000004E18: D3F30058 1D623188
	v_mfma_f32_16x16x32_fp8_fp8 v[88:91], a[138:139], a[26:27], v[88:91]// 000000004E20: D3F30058 1D62358A
	v_mfma_f32_16x16x32_fp8_fp8 v[88:91], a[140:141], a[28:29], v[88:91]// 000000004E28: D3F30058 1D62398C
	v_mfma_f32_16x16x32_fp8_fp8 v[88:91], a[142:143], a[30:31], v[88:91]// 000000004E30: D3F30058 1D623D8E
	v_mfma_f32_16x16x32_fp8_fp8 v[104:107], a[144:145], a[24:25], v[104:107]// 000000004E38: D3F30068 1DA23190
	v_mfma_f32_16x16x32_fp8_fp8 v[104:107], a[146:147], a[26:27], v[104:107]// 000000004E40: D3F30068 1DA23592
	v_mfma_f32_16x16x32_fp8_fp8 v[104:107], a[148:149], a[28:29], v[104:107]// 000000004E48: D3F30068 1DA23994
	v_mfma_f32_16x16x32_fp8_fp8 v[104:107], a[150:151], a[30:31], v[104:107]// 000000004E50: D3F30068 1DA23D96
	v_mfma_f32_16x16x32_fp8_fp8 v[120:123], a[152:153], a[24:25], v[120:123]// 000000004E58: D3F30078 1DE23198
	v_mfma_f32_16x16x32_fp8_fp8 v[120:123], a[154:155], a[26:27], v[120:123]// 000000004E60: D3F30078 1DE2359A
	v_mfma_f32_16x16x32_fp8_fp8 v[120:123], a[156:157], a[28:29], v[120:123]// 000000004E68: D3F30078 1DE2399C
	v_mfma_f32_16x16x32_fp8_fp8 v[120:123], a[158:159], a[30:31], v[120:123]// 000000004E70: D3F30078 1DE23D9E
	s_waitcnt vmcnt(16)                                        // 000000004E78: BF8C4F70
	s_barrier                                                  // 000000004E7C: BF8A0000
	v_mfma_f32_16x16x32_fp8_fp8 v[124:127], a[64:65], a[0:1], v[124:127]// 000000004E80: D3F3007C 1DF20140
	v_mfma_f32_16x16x32_fp8_fp8 v[124:127], a[66:67], a[2:3], v[124:127]// 000000004E88: D3F3007C 1DF20542
	buffer_load_dwordx4 a[128:131], v54, s[84:87], 0 offen     // 000000004E90: E05C1000 80958036
	v_mfma_f32_16x16x32_fp8_fp8 v[124:127], a[68:69], a[4:5], v[124:127]// 000000004E98: D3F3007C 1DF20944
	v_mfma_f32_16x16x32_fp8_fp8 v[124:127], a[70:71], a[6:7], v[124:127]// 000000004EA0: D3F3007C 1DF20D46
	ds_read_b128 a[32:35], v2 offset:16640                     // 000000004EA8: DBFE4100 20000002
	ds_read_b128 a[36:39], v2 offset:16704                     // 000000004EB0: DBFE4140 24000002
	v_mfma_f32_16x16x32_fp8_fp8 v[140:143], a[72:73], a[0:1], v[140:143]// 000000004EB8: D3F3008C 1E320148
	v_mfma_f32_16x16x32_fp8_fp8 v[140:143], a[74:75], a[2:3], v[140:143]// 000000004EC0: D3F3008C 1E32054A
	buffer_load_dwordx4 a[132:135], v54, s[84:87], 0 offen offset:1024// 000000004EC8: E05C1400 80958436
	v_mfma_f32_16x16x32_fp8_fp8 v[140:143], a[76:77], a[4:5], v[140:143]// 000000004ED0: D3F3008C 1E32094C
	v_mfma_f32_16x16x32_fp8_fp8 v[140:143], a[78:79], a[6:7], v[140:143]// 000000004ED8: D3F3008C 1E320D4E
	ds_read_b128 a[40:43], v2 offset:17152                     // 000000004EE0: DBFE4300 28000002
	ds_read_b128 a[44:47], v2 offset:17216                     // 000000004EE8: DBFE4340 2C000002
	v_mfma_f32_16x16x32_fp8_fp8 v[156:159], a[80:81], a[0:1], v[156:159]// 000000004EF0: D3F3009C 1E720150
	v_mfma_f32_16x16x32_fp8_fp8 v[156:159], a[82:83], a[2:3], v[156:159]// 000000004EF8: D3F3009C 1E720552
	buffer_load_dwordx4 a[136:139], v55, s[84:87], 0 offen     // 000000004F00: E05C1000 80958837
	v_mfma_f32_16x16x32_fp8_fp8 v[156:159], a[84:85], a[4:5], v[156:159]// 000000004F08: D3F3009C 1E720954
	v_mfma_f32_16x16x32_fp8_fp8 v[156:159], a[86:87], a[6:7], v[156:159]// 000000004F10: D3F3009C 1E720D56
	ds_read_b128 a[48:51], v2 offset:17664                     // 000000004F18: DBFE4500 30000002
	ds_read_b128 a[52:55], v2 offset:17728                     // 000000004F20: DBFE4540 34000002
	v_mfma_f32_16x16x32_fp8_fp8 v[172:175], a[88:89], a[0:1], v[172:175]// 000000004F28: D3F300AC 1EB20158
	v_mfma_f32_16x16x32_fp8_fp8 v[172:175], a[90:91], a[2:3], v[172:175]// 000000004F30: D3F300AC 1EB2055A
	buffer_load_dwordx4 a[140:143], v55, s[84:87], 0 offen offset:1024// 000000004F38: E05C1400 80958C37
	v_mfma_f32_16x16x32_fp8_fp8 v[172:175], a[92:93], a[4:5], v[172:175]// 000000004F40: D3F300AC 1EB2095C
	v_mfma_f32_16x16x32_fp8_fp8 v[172:175], a[94:95], a[6:7], v[172:175]// 000000004F48: D3F300AC 1EB20D5E
	ds_read_b128 a[56:59], v2 offset:18176                     // 000000004F50: DBFE4700 38000002
	ds_read_b128 a[60:63], v2 offset:18240                     // 000000004F58: DBFE4740 3C000002
	v_mfma_f32_16x16x32_fp8_fp8 v[128:131], a[64:65], a[8:9], v[128:131]// 000000004F60: D3F30080 1E021140
	v_mfma_f32_16x16x32_fp8_fp8 v[128:131], a[66:67], a[10:11], v[128:131]// 000000004F68: D3F30080 1E021542
	buffer_load_dwordx4 a[144:147], v56, s[84:87], 0 offen     // 000000004F70: E05C1000 80959038
	v_mfma_f32_16x16x32_fp8_fp8 v[128:131], a[68:69], a[12:13], v[128:131]// 000000004F78: D3F30080 1E021944
	v_mfma_f32_16x16x32_fp8_fp8 v[128:131], a[70:71], a[14:15], v[128:131]// 000000004F80: D3F30080 1E021D46
	v_mfma_f32_16x16x32_fp8_fp8 v[144:147], a[72:73], a[8:9], v[144:147]// 000000004F88: D3F30090 1E421148
	v_mfma_f32_16x16x32_fp8_fp8 v[144:147], a[74:75], a[10:11], v[144:147]// 000000004F90: D3F30090 1E42154A
	buffer_load_dwordx4 a[148:151], v56, s[84:87], 0 offen offset:1024// 000000004F98: E05C1400 80959438
	v_mfma_f32_16x16x32_fp8_fp8 v[144:147], a[76:77], a[12:13], v[144:147]// 000000004FA0: D3F30090 1E42194C
	v_mfma_f32_16x16x32_fp8_fp8 v[144:147], a[78:79], a[14:15], v[144:147]// 000000004FA8: D3F30090 1E421D4E
	v_mfma_f32_16x16x32_fp8_fp8 v[160:163], a[80:81], a[8:9], v[160:163]// 000000004FB0: D3F300A0 1E821150
	v_mfma_f32_16x16x32_fp8_fp8 v[160:163], a[82:83], a[10:11], v[160:163]// 000000004FB8: D3F300A0 1E821552
	buffer_load_dwordx4 a[152:155], v57, s[84:87], 0 offen     // 000000004FC0: E05C1000 80959839
	v_mfma_f32_16x16x32_fp8_fp8 v[160:163], a[84:85], a[12:13], v[160:163]// 000000004FC8: D3F300A0 1E821954
	v_mfma_f32_16x16x32_fp8_fp8 v[160:163], a[86:87], a[14:15], v[160:163]// 000000004FD0: D3F300A0 1E821D56
	v_mfma_f32_16x16x32_fp8_fp8 v[176:179], a[88:89], a[8:9], v[176:179]// 000000004FD8: D3F300B0 1EC21158
	v_mfma_f32_16x16x32_fp8_fp8 v[176:179], a[90:91], a[10:11], v[176:179]// 000000004FE0: D3F300B0 1EC2155A
	buffer_load_dwordx4 a[156:159], v57, s[84:87], 0 offen offset:1024// 000000004FE8: E05C1400 80959C39
	v_mfma_f32_16x16x32_fp8_fp8 v[176:179], a[92:93], a[12:13], v[176:179]// 000000004FF0: D3F300B0 1EC2195C
	v_mfma_f32_16x16x32_fp8_fp8 v[176:179], a[94:95], a[14:15], v[176:179]// 000000004FF8: D3F300B0 1EC21D5E
	v_mfma_f32_16x16x32_fp8_fp8 v[132:135], a[64:65], a[16:17], v[132:135]// 000000005000: D3F30084 1E122140
	v_mfma_f32_16x16x32_fp8_fp8 v[132:135], a[66:67], a[18:19], v[132:135]// 000000005008: D3F30084 1E122542
	v_mfma_f32_16x16x32_fp8_fp8 v[132:135], a[68:69], a[20:21], v[132:135]// 000000005010: D3F30084 1E122944
	v_mfma_f32_16x16x32_fp8_fp8 v[132:135], a[70:71], a[22:23], v[132:135]// 000000005018: D3F30084 1E122D46
	v_mfma_f32_16x16x32_fp8_fp8 v[148:151], a[72:73], a[16:17], v[148:151]// 000000005020: D3F30094 1E522148
	v_mfma_f32_16x16x32_fp8_fp8 v[148:151], a[74:75], a[18:19], v[148:151]// 000000005028: D3F30094 1E52254A
	v_mfma_f32_16x16x32_fp8_fp8 v[148:151], a[76:77], a[20:21], v[148:151]// 000000005030: D3F30094 1E52294C
	v_mfma_f32_16x16x32_fp8_fp8 v[148:151], a[78:79], a[22:23], v[148:151]// 000000005038: D3F30094 1E522D4E
	v_mfma_f32_16x16x32_fp8_fp8 v[164:167], a[80:81], a[16:17], v[164:167]// 000000005040: D3F300A4 1E922150
	v_mfma_f32_16x16x32_fp8_fp8 v[164:167], a[82:83], a[18:19], v[164:167]// 000000005048: D3F300A4 1E922552
	v_mfma_f32_16x16x32_fp8_fp8 v[164:167], a[84:85], a[20:21], v[164:167]// 000000005050: D3F300A4 1E922954
	v_mfma_f32_16x16x32_fp8_fp8 v[164:167], a[86:87], a[22:23], v[164:167]// 000000005058: D3F300A4 1E922D56
	v_mfma_f32_16x16x32_fp8_fp8 v[180:183], a[88:89], a[16:17], v[180:183]// 000000005060: D3F300B4 1ED22158
	v_mfma_f32_16x16x32_fp8_fp8 v[180:183], a[90:91], a[18:19], v[180:183]// 000000005068: D3F300B4 1ED2255A
	v_mfma_f32_16x16x32_fp8_fp8 v[180:183], a[92:93], a[20:21], v[180:183]// 000000005070: D3F300B4 1ED2295C
	v_mfma_f32_16x16x32_fp8_fp8 v[180:183], a[94:95], a[22:23], v[180:183]// 000000005078: D3F300B4 1ED22D5E
	v_mfma_f32_16x16x32_fp8_fp8 v[136:139], a[64:65], a[24:25], v[136:139]// 000000005080: D3F30088 1E223140
	v_mfma_f32_16x16x32_fp8_fp8 v[136:139], a[66:67], a[26:27], v[136:139]// 000000005088: D3F30088 1E223542
	v_mfma_f32_16x16x32_fp8_fp8 v[136:139], a[68:69], a[28:29], v[136:139]// 000000005090: D3F30088 1E223944
	v_mfma_f32_16x16x32_fp8_fp8 v[136:139], a[70:71], a[30:31], v[136:139]// 000000005098: D3F30088 1E223D46
	v_mfma_f32_16x16x32_fp8_fp8 v[152:155], a[72:73], a[24:25], v[152:155]// 0000000050A0: D3F30098 1E623148
	v_mfma_f32_16x16x32_fp8_fp8 v[152:155], a[74:75], a[26:27], v[152:155]// 0000000050A8: D3F30098 1E62354A
	v_mfma_f32_16x16x32_fp8_fp8 v[152:155], a[76:77], a[28:29], v[152:155]// 0000000050B0: D3F30098 1E62394C
	v_mfma_f32_16x16x32_fp8_fp8 v[152:155], a[78:79], a[30:31], v[152:155]// 0000000050B8: D3F30098 1E623D4E
	v_mfma_f32_16x16x32_fp8_fp8 v[168:171], a[80:81], a[24:25], v[168:171]// 0000000050C0: D3F300A8 1EA23150
	s_add_u32 s60, 0x180, s80                                  // 0000000050C8: 803C50FF 00000180
	s_cmp_lt_u32 s60, s81                                      // 0000000050D0: BF0A513C
	s_cselect_b32 s57, s57, 0                                  // 0000000050D4: 85398039
	v_mfma_f32_16x16x32_fp8_fp8 v[168:171], a[82:83], a[26:27], v[168:171]// 0000000050D8: D3F300A8 1EA23552
	s_add_u32 s60, 0x100, s80                                  // 0000000050E0: 803C50FF 00000100
	s_cmp_lt_u32 s60, s81                                      // 0000000050E8: BF0A513C
	s_cselect_b32 s58, s58, 0                                  // 0000000050EC: 853A803A
	v_mfma_f32_16x16x32_fp8_fp8 v[168:171], a[84:85], a[28:29], v[168:171]// 0000000050F0: D3F300A8 1EA23954
	s_add_u32 s60, 0x100, s80                                  // 0000000050F8: 803C50FF 00000100
	s_cmp_lt_u32 s60, s81                                      // 000000005100: BF0A513C
	s_cselect_b32 s83, s83, 0                                  // 000000005104: 85538053
	v_mfma_f32_16x16x32_fp8_fp8 v[168:171], a[86:87], a[30:31], v[168:171]// 000000005108: D3F300A8 1EA23D56
	s_add_u32 s24, s58, s24                                    // 000000005110: 8018183A
	s_addc_u32 s25, 0, s25                                     // 000000005114: 82191980
	v_mfma_f32_16x16x32_fp8_fp8 v[184:187], a[88:89], a[24:25], v[184:187]// 000000005118: D3F300B8 1EE23158
	s_add_u32 s20, s57, s20                                    // 000000005120: 80141439
	s_addc_u32 s21, 0, s21                                     // 000000005124: 82151580
	v_mfma_f32_16x16x32_fp8_fp8 v[184:187], a[90:91], a[26:27], v[184:187]// 000000005128: D3F300B8 1EE2355A
	s_add_u32 s84, s83, s84                                    // 000000005130: 80545453
	s_addc_u32 s85, 0, s85                                     // 000000005134: 82555580
	v_mfma_f32_16x16x32_fp8_fp8 v[184:187], a[92:93], a[28:29], v[184:187]// 000000005138: D3F300B8 1EE2395C
	v_mfma_f32_16x16x32_fp8_fp8 v[184:187], a[94:95], a[30:31], v[184:187]// 000000005140: D3F300B8 1EE23D5E
	s_addk_i32 s80, 0x80                                       // 000000005148: B7500080
	s_cmp_lt_i32 s80, s81                                      // 00000000514C: BF045150
	s_cbranch_scc0 label_0B3D                                  // 000000005150: BF840168
	s_waitcnt vmcnt(16) lgkmcnt(0)                             // 000000005154: BF8C4070
	v_mfma_f32_16x16x32_fp8_fp8 v[60:63], a[96:97], a[32:33], v[60:63]// 000000005158: D3F3003C 1CF24160
	v_mfma_f32_16x16x32_fp8_fp8 v[60:63], a[98:99], a[34:35], v[60:63]// 000000005160: D3F3003C 1CF24562
	buffer_load_dwordx4 a[64:67], v54, s[24:27], 0 offen       // 000000005168: E05C1000 80864036
	v_mfma_f32_16x16x32_fp8_fp8 v[60:63], a[100:101], a[36:37], v[60:63]// 000000005170: D3F3003C 1CF24964
	v_mfma_f32_16x16x32_fp8_fp8 v[60:63], a[102:103], a[38:39], v[60:63]// 000000005178: D3F3003C 1CF24D66
	v_mfma_f32_16x16x32_fp8_fp8 v[76:79], a[104:105], a[32:33], v[76:79]// 000000005180: D3F3004C 1D324168
	v_mfma_f32_16x16x32_fp8_fp8 v[76:79], a[106:107], a[34:35], v[76:79]// 000000005188: D3F3004C 1D32456A
	buffer_load_dwordx4 a[68:71], v54, s[24:27], 0 offen offset:1024// 000000005190: E05C1400 80864436
	v_mfma_f32_16x16x32_fp8_fp8 v[76:79], a[108:109], a[36:37], v[76:79]// 000000005198: D3F3004C 1D32496C
	v_mfma_f32_16x16x32_fp8_fp8 v[76:79], a[110:111], a[38:39], v[76:79]// 0000000051A0: D3F3004C 1D324D6E
	v_mfma_f32_16x16x32_fp8_fp8 v[92:95], a[112:113], a[32:33], v[92:95]// 0000000051A8: D3F3005C 1D724170
	v_mfma_f32_16x16x32_fp8_fp8 v[92:95], a[114:115], a[34:35], v[92:95]// 0000000051B0: D3F3005C 1D724572
	buffer_load_dwordx4 a[72:75], v55, s[24:27], 0 offen       // 0000000051B8: E05C1000 80864837
	v_mfma_f32_16x16x32_fp8_fp8 v[92:95], a[116:117], a[36:37], v[92:95]// 0000000051C0: D3F3005C 1D724974
	v_mfma_f32_16x16x32_fp8_fp8 v[92:95], a[118:119], a[38:39], v[92:95]// 0000000051C8: D3F3005C 1D724D76
	v_mfma_f32_16x16x32_fp8_fp8 v[108:111], a[120:121], a[32:33], v[108:111]// 0000000051D0: D3F3006C 1DB24178
	v_mfma_f32_16x16x32_fp8_fp8 v[108:111], a[122:123], a[34:35], v[108:111]// 0000000051D8: D3F3006C 1DB2457A
	buffer_load_dwordx4 a[76:79], v55, s[24:27], 0 offen offset:1024// 0000000051E0: E05C1400 80864C37
	v_mfma_f32_16x16x32_fp8_fp8 v[108:111], a[124:125], a[36:37], v[108:111]// 0000000051E8: D3F3006C 1DB2497C
	v_mfma_f32_16x16x32_fp8_fp8 v[108:111], a[126:127], a[38:39], v[108:111]// 0000000051F0: D3F3006C 1DB24D7E
	v_mfma_f32_16x16x32_fp8_fp8 v[64:67], a[96:97], a[40:41], v[64:67]// 0000000051F8: D3F30040 1D025160
	v_mfma_f32_16x16x32_fp8_fp8 v[64:67], a[98:99], a[42:43], v[64:67]// 000000005200: D3F30040 1D025562
	buffer_load_dwordx4 a[80:83], v56, s[24:27], 0 offen       // 000000005208: E05C1000 80865038
	v_mfma_f32_16x16x32_fp8_fp8 v[64:67], a[100:101], a[44:45], v[64:67]// 000000005210: D3F30040 1D025964
	v_mfma_f32_16x16x32_fp8_fp8 v[64:67], a[102:103], a[46:47], v[64:67]// 000000005218: D3F30040 1D025D66
	v_mfma_f32_16x16x32_fp8_fp8 v[80:83], a[104:105], a[40:41], v[80:83]// 000000005220: D3F30050 1D425168
	v_mfma_f32_16x16x32_fp8_fp8 v[80:83], a[106:107], a[42:43], v[80:83]// 000000005228: D3F30050 1D42556A
	buffer_load_dwordx4 a[84:87], v56, s[24:27], 0 offen offset:1024// 000000005230: E05C1400 80865438
	v_mfma_f32_16x16x32_fp8_fp8 v[80:83], a[108:109], a[44:45], v[80:83]// 000000005238: D3F30050 1D42596C
	v_mfma_f32_16x16x32_fp8_fp8 v[80:83], a[110:111], a[46:47], v[80:83]// 000000005240: D3F30050 1D425D6E
	v_mfma_f32_16x16x32_fp8_fp8 v[96:99], a[112:113], a[40:41], v[96:99]// 000000005248: D3F30060 1D825170
	v_mfma_f32_16x16x32_fp8_fp8 v[96:99], a[114:115], a[42:43], v[96:99]// 000000005250: D3F30060 1D825572
	buffer_load_dwordx4 a[88:91], v57, s[24:27], 0 offen       // 000000005258: E05C1000 80865839
	v_mfma_f32_16x16x32_fp8_fp8 v[96:99], a[116:117], a[44:45], v[96:99]// 000000005260: D3F30060 1D825974
	v_mfma_f32_16x16x32_fp8_fp8 v[96:99], a[118:119], a[46:47], v[96:99]// 000000005268: D3F30060 1D825D76
	v_mfma_f32_16x16x32_fp8_fp8 v[112:115], a[120:121], a[40:41], v[112:115]// 000000005270: D3F30070 1DC25178
	v_mfma_f32_16x16x32_fp8_fp8 v[112:115], a[122:123], a[42:43], v[112:115]// 000000005278: D3F30070 1DC2557A
	buffer_load_dwordx4 a[92:95], v57, s[24:27], 0 offen offset:1024// 000000005280: E05C1400 80865C39
	buffer_load_dword v46, s[20:23], 0 offen lds               // 000000005288: E0511000 8005002E
	s_add_u32 m0, 0x100, s49                                   // 000000005290: 807C31FF 00000100
	v_mfma_f32_16x16x32_fp8_fp8 v[112:115], a[124:125], a[44:45], v[112:115]// 000000005298: D3F30070 1DC2597C
	v_mfma_f32_16x16x32_fp8_fp8 v[112:115], a[126:127], a[46:47], v[112:115]// 0000000052A0: D3F30070 1DC25D7E
	buffer_load_dword v47, s[20:23], 0 offen lds               // 0000000052A8: E0511000 8005002F
	s_add_u32 m0, 0x200, s49                                   // 0000000052B0: 807C31FF 00000200
	v_mfma_f32_16x16x32_fp8_fp8 v[68:71], a[96:97], a[48:49], v[68:71]// 0000000052B8: D3F30044 1D126160
	v_mfma_f32_16x16x32_fp8_fp8 v[68:71], a[98:99], a[50:51], v[68:71]// 0000000052C0: D3F30044 1D126562
	buffer_load_dword v48, s[20:23], 0 offen lds               // 0000000052C8: E0511000 80050030
	s_add_u32 m0, 0x300, s49                                   // 0000000052D0: 807C31FF 00000300
	v_mfma_f32_16x16x32_fp8_fp8 v[68:71], a[100:101], a[52:53], v[68:71]// 0000000052D8: D3F30044 1D126964
	v_mfma_f32_16x16x32_fp8_fp8 v[68:71], a[102:103], a[54:55], v[68:71]// 0000000052E0: D3F30044 1D126D66
	buffer_load_dword v49, s[20:23], 0 offen lds               // 0000000052E8: E0511000 80050031
	s_add_u32 m0, 0x400, s49                                   // 0000000052F0: 807C31FF 00000400
	v_mfma_f32_16x16x32_fp8_fp8 v[84:87], a[104:105], a[48:49], v[84:87]// 0000000052F8: D3F30054 1D526168
	v_mfma_f32_16x16x32_fp8_fp8 v[84:87], a[106:107], a[50:51], v[84:87]// 000000005300: D3F30054 1D52656A
	buffer_load_dword v50, s[20:23], 0 offen lds               // 000000005308: E0511000 80050032
	s_add_u32 m0, 0x500, s49                                   // 000000005310: 807C31FF 00000500
	v_mfma_f32_16x16x32_fp8_fp8 v[84:87], a[108:109], a[52:53], v[84:87]// 000000005318: D3F30054 1D52696C
	v_mfma_f32_16x16x32_fp8_fp8 v[84:87], a[110:111], a[54:55], v[84:87]// 000000005320: D3F30054 1D526D6E
	buffer_load_dword v51, s[20:23], 0 offen lds               // 000000005328: E0511000 80050033
	s_add_u32 m0, 0x600, s49                                   // 000000005330: 807C31FF 00000600
	v_mfma_f32_16x16x32_fp8_fp8 v[100:103], a[112:113], a[48:49], v[100:103]// 000000005338: D3F30064 1D926170
	v_mfma_f32_16x16x32_fp8_fp8 v[100:103], a[114:115], a[50:51], v[100:103]// 000000005340: D3F30064 1D926572
	buffer_load_dword v52, s[20:23], 0 offen lds               // 000000005348: E0511000 80050034
	s_add_u32 m0, 0x700, s49                                   // 000000005350: 807C31FF 00000700
	v_mfma_f32_16x16x32_fp8_fp8 v[100:103], a[116:117], a[52:53], v[100:103]// 000000005358: D3F30064 1D926974
	v_mfma_f32_16x16x32_fp8_fp8 v[100:103], a[118:119], a[54:55], v[100:103]// 000000005360: D3F30064 1D926D76
	buffer_load_dword v53, s[20:23], 0 offen lds               // 000000005368: E0511000 80050035
	s_add_u32 m0, 0, s50                                       // 000000005370: 807C3280
	v_mfma_f32_16x16x32_fp8_fp8 v[116:119], a[120:121], a[48:49], v[116:119]// 000000005374: D3F30074 1DD26178
	v_mfma_f32_16x16x32_fp8_fp8 v[116:119], a[122:123], a[50:51], v[116:119]// 00000000537C: D3F30074 1DD2657A
	v_mfma_f32_16x16x32_fp8_fp8 v[116:119], a[124:125], a[52:53], v[116:119]// 000000005384: D3F30074 1DD2697C
	v_mfma_f32_16x16x32_fp8_fp8 v[116:119], a[126:127], a[54:55], v[116:119]// 00000000538C: D3F30074 1DD26D7E
	v_mfma_f32_16x16x32_fp8_fp8 v[72:75], a[96:97], a[56:57], v[72:75]// 000000005394: D3F30048 1D227160
	v_mfma_f32_16x16x32_fp8_fp8 v[72:75], a[98:99], a[58:59], v[72:75]// 00000000539C: D3F30048 1D227562
	v_mfma_f32_16x16x32_fp8_fp8 v[72:75], a[100:101], a[60:61], v[72:75]// 0000000053A4: D3F30048 1D227964
	v_mfma_f32_16x16x32_fp8_fp8 v[72:75], a[102:103], a[62:63], v[72:75]// 0000000053AC: D3F30048 1D227D66
	v_mfma_f32_16x16x32_fp8_fp8 v[88:91], a[104:105], a[56:57], v[88:91]// 0000000053B4: D3F30058 1D627168
	v_mfma_f32_16x16x32_fp8_fp8 v[88:91], a[106:107], a[58:59], v[88:91]// 0000000053BC: D3F30058 1D62756A
	v_mfma_f32_16x16x32_fp8_fp8 v[88:91], a[108:109], a[60:61], v[88:91]// 0000000053C4: D3F30058 1D62796C
	v_mfma_f32_16x16x32_fp8_fp8 v[88:91], a[110:111], a[62:63], v[88:91]// 0000000053CC: D3F30058 1D627D6E
	v_mfma_f32_16x16x32_fp8_fp8 v[104:107], a[112:113], a[56:57], v[104:107]// 0000000053D4: D3F30068 1DA27170
	v_mfma_f32_16x16x32_fp8_fp8 v[104:107], a[114:115], a[58:59], v[104:107]// 0000000053DC: D3F30068 1DA27572
	v_mfma_f32_16x16x32_fp8_fp8 v[104:107], a[116:117], a[60:61], v[104:107]// 0000000053E4: D3F30068 1DA27974
	v_mfma_f32_16x16x32_fp8_fp8 v[104:107], a[118:119], a[62:63], v[104:107]// 0000000053EC: D3F30068 1DA27D76
	v_mfma_f32_16x16x32_fp8_fp8 v[120:123], a[120:121], a[56:57], v[120:123]// 0000000053F4: D3F30078 1DE27178
	v_mfma_f32_16x16x32_fp8_fp8 v[120:123], a[122:123], a[58:59], v[120:123]// 0000000053FC: D3F30078 1DE2757A
	v_mfma_f32_16x16x32_fp8_fp8 v[120:123], a[124:125], a[60:61], v[120:123]// 000000005404: D3F30078 1DE2797C
	v_mfma_f32_16x16x32_fp8_fp8 v[120:123], a[126:127], a[62:63], v[120:123]// 00000000540C: D3F30078 1DE27D7E
	s_waitcnt vmcnt(16)                                        // 000000005414: BF8C4F70
	s_barrier                                                  // 000000005418: BF8A0000
	v_mfma_f32_16x16x32_fp8_fp8 v[124:127], a[128:129], a[32:33], v[124:127]// 00000000541C: D3F3007C 1DF24180
	v_mfma_f32_16x16x32_fp8_fp8 v[124:127], a[130:131], a[34:35], v[124:127]// 000000005424: D3F3007C 1DF24582
	buffer_load_dwordx4 a[96:99], v54, s[84:87], 0 offen       // 00000000542C: E05C1000 80956036
	v_mfma_f32_16x16x32_fp8_fp8 v[124:127], a[132:133], a[36:37], v[124:127]// 000000005434: D3F3007C 1DF24984
	v_mfma_f32_16x16x32_fp8_fp8 v[124:127], a[134:135], a[38:39], v[124:127]// 00000000543C: D3F3007C 1DF24D86
	ds_read_b128 a[0:3], v2                                    // 000000005444: DBFE0000 00000002
	ds_read_b128 a[4:7], v2 offset:64                          // 00000000544C: DBFE0040 04000002
	v_mfma_f32_16x16x32_fp8_fp8 v[140:143], a[136:137], a[32:33], v[140:143]// 000000005454: D3F3008C 1E324188
	v_mfma_f32_16x16x32_fp8_fp8 v[140:143], a[138:139], a[34:35], v[140:143]// 00000000545C: D3F3008C 1E32458A
	buffer_load_dwordx4 a[100:103], v54, s[84:87], 0 offen offset:1024// 000000005464: E05C1400 80956436
	v_mfma_f32_16x16x32_fp8_fp8 v[140:143], a[140:141], a[36:37], v[140:143]// 00000000546C: D3F3008C 1E32498C
	v_mfma_f32_16x16x32_fp8_fp8 v[140:143], a[142:143], a[38:39], v[140:143]// 000000005474: D3F3008C 1E324D8E
	ds_read_b128 a[8:11], v2 offset:512                        // 00000000547C: DBFE0200 08000002
	ds_read_b128 a[12:15], v2 offset:576                       // 000000005484: DBFE0240 0C000002
	v_mfma_f32_16x16x32_fp8_fp8 v[156:159], a[144:145], a[32:33], v[156:159]// 00000000548C: D3F3009C 1E724190
	v_mfma_f32_16x16x32_fp8_fp8 v[156:159], a[146:147], a[34:35], v[156:159]// 000000005494: D3F3009C 1E724592
	buffer_load_dwordx4 a[104:107], v55, s[84:87], 0 offen     // 00000000549C: E05C1000 80956837
	v_mfma_f32_16x16x32_fp8_fp8 v[156:159], a[148:149], a[36:37], v[156:159]// 0000000054A4: D3F3009C 1E724994
	v_mfma_f32_16x16x32_fp8_fp8 v[156:159], a[150:151], a[38:39], v[156:159]// 0000000054AC: D3F3009C 1E724D96
	ds_read_b128 a[16:19], v2 offset:1024                      // 0000000054B4: DBFE0400 10000002
	ds_read_b128 a[20:23], v2 offset:1088                      // 0000000054BC: DBFE0440 14000002
	v_mfma_f32_16x16x32_fp8_fp8 v[172:175], a[152:153], a[32:33], v[172:175]// 0000000054C4: D3F300AC 1EB24198
	v_mfma_f32_16x16x32_fp8_fp8 v[172:175], a[154:155], a[34:35], v[172:175]// 0000000054CC: D3F300AC 1EB2459A
	buffer_load_dwordx4 a[108:111], v55, s[84:87], 0 offen offset:1024// 0000000054D4: E05C1400 80956C37
	v_mfma_f32_16x16x32_fp8_fp8 v[172:175], a[156:157], a[36:37], v[172:175]// 0000000054DC: D3F300AC 1EB2499C
	v_mfma_f32_16x16x32_fp8_fp8 v[172:175], a[158:159], a[38:39], v[172:175]// 0000000054E4: D3F300AC 1EB24D9E
	ds_read_b128 a[24:27], v2 offset:1536                      // 0000000054EC: DBFE0600 18000002
	ds_read_b128 a[28:31], v2 offset:1600                      // 0000000054F4: DBFE0640 1C000002
	v_mfma_f32_16x16x32_fp8_fp8 v[128:131], a[128:129], a[40:41], v[128:131]// 0000000054FC: D3F30080 1E025180
	v_mfma_f32_16x16x32_fp8_fp8 v[128:131], a[130:131], a[42:43], v[128:131]// 000000005504: D3F30080 1E025582
	buffer_load_dwordx4 a[112:115], v56, s[84:87], 0 offen     // 00000000550C: E05C1000 80957038
	v_mfma_f32_16x16x32_fp8_fp8 v[128:131], a[132:133], a[44:45], v[128:131]// 000000005514: D3F30080 1E025984
	v_mfma_f32_16x16x32_fp8_fp8 v[128:131], a[134:135], a[46:47], v[128:131]// 00000000551C: D3F30080 1E025D86
	v_mfma_f32_16x16x32_fp8_fp8 v[144:147], a[136:137], a[40:41], v[144:147]// 000000005524: D3F30090 1E425188
	v_mfma_f32_16x16x32_fp8_fp8 v[144:147], a[138:139], a[42:43], v[144:147]// 00000000552C: D3F30090 1E42558A
	buffer_load_dwordx4 a[116:119], v56, s[84:87], 0 offen offset:1024// 000000005534: E05C1400 80957438
	v_mfma_f32_16x16x32_fp8_fp8 v[144:147], a[140:141], a[44:45], v[144:147]// 00000000553C: D3F30090 1E42598C
	v_mfma_f32_16x16x32_fp8_fp8 v[144:147], a[142:143], a[46:47], v[144:147]// 000000005544: D3F30090 1E425D8E
	v_mfma_f32_16x16x32_fp8_fp8 v[160:163], a[144:145], a[40:41], v[160:163]// 00000000554C: D3F300A0 1E825190
	v_mfma_f32_16x16x32_fp8_fp8 v[160:163], a[146:147], a[42:43], v[160:163]// 000000005554: D3F300A0 1E825592
	buffer_load_dwordx4 a[120:123], v57, s[84:87], 0 offen     // 00000000555C: E05C1000 80957839
	v_mfma_f32_16x16x32_fp8_fp8 v[160:163], a[148:149], a[44:45], v[160:163]// 000000005564: D3F300A0 1E825994
	v_mfma_f32_16x16x32_fp8_fp8 v[160:163], a[150:151], a[46:47], v[160:163]// 00000000556C: D3F300A0 1E825D96
	v_mfma_f32_16x16x32_fp8_fp8 v[176:179], a[152:153], a[40:41], v[176:179]// 000000005574: D3F300B0 1EC25198
	v_mfma_f32_16x16x32_fp8_fp8 v[176:179], a[154:155], a[42:43], v[176:179]// 00000000557C: D3F300B0 1EC2559A
	buffer_load_dwordx4 a[124:127], v57, s[84:87], 0 offen offset:1024// 000000005584: E05C1400 80957C39
	v_mfma_f32_16x16x32_fp8_fp8 v[176:179], a[156:157], a[44:45], v[176:179]// 00000000558C: D3F300B0 1EC2599C
	v_mfma_f32_16x16x32_fp8_fp8 v[176:179], a[158:159], a[46:47], v[176:179]// 000000005594: D3F300B0 1EC25D9E
	v_mfma_f32_16x16x32_fp8_fp8 v[132:135], a[128:129], a[48:49], v[132:135]// 00000000559C: D3F30084 1E126180
	v_mfma_f32_16x16x32_fp8_fp8 v[132:135], a[130:131], a[50:51], v[132:135]// 0000000055A4: D3F30084 1E126582
	v_mfma_f32_16x16x32_fp8_fp8 v[132:135], a[132:133], a[52:53], v[132:135]// 0000000055AC: D3F30084 1E126984
	v_mfma_f32_16x16x32_fp8_fp8 v[132:135], a[134:135], a[54:55], v[132:135]// 0000000055B4: D3F30084 1E126D86
	v_mfma_f32_16x16x32_fp8_fp8 v[148:151], a[136:137], a[48:49], v[148:151]// 0000000055BC: D3F30094 1E526188
	v_mfma_f32_16x16x32_fp8_fp8 v[148:151], a[138:139], a[50:51], v[148:151]// 0000000055C4: D3F30094 1E52658A
	v_mfma_f32_16x16x32_fp8_fp8 v[148:151], a[140:141], a[52:53], v[148:151]// 0000000055CC: D3F30094 1E52698C
	v_mfma_f32_16x16x32_fp8_fp8 v[148:151], a[142:143], a[54:55], v[148:151]// 0000000055D4: D3F30094 1E526D8E
	v_mfma_f32_16x16x32_fp8_fp8 v[164:167], a[144:145], a[48:49], v[164:167]// 0000000055DC: D3F300A4 1E926190
	v_mfma_f32_16x16x32_fp8_fp8 v[164:167], a[146:147], a[50:51], v[164:167]// 0000000055E4: D3F300A4 1E926592
	v_mfma_f32_16x16x32_fp8_fp8 v[164:167], a[148:149], a[52:53], v[164:167]// 0000000055EC: D3F300A4 1E926994
	v_mfma_f32_16x16x32_fp8_fp8 v[164:167], a[150:151], a[54:55], v[164:167]// 0000000055F4: D3F300A4 1E926D96
	v_mfma_f32_16x16x32_fp8_fp8 v[180:183], a[152:153], a[48:49], v[180:183]// 0000000055FC: D3F300B4 1ED26198
	v_mfma_f32_16x16x32_fp8_fp8 v[180:183], a[154:155], a[50:51], v[180:183]// 000000005604: D3F300B4 1ED2659A
	v_mfma_f32_16x16x32_fp8_fp8 v[180:183], a[156:157], a[52:53], v[180:183]// 00000000560C: D3F300B4 1ED2699C
	v_mfma_f32_16x16x32_fp8_fp8 v[180:183], a[158:159], a[54:55], v[180:183]// 000000005614: D3F300B4 1ED26D9E
	v_mfma_f32_16x16x32_fp8_fp8 v[136:139], a[128:129], a[56:57], v[136:139]// 00000000561C: D3F30088 1E227180
	v_mfma_f32_16x16x32_fp8_fp8 v[136:139], a[130:131], a[58:59], v[136:139]// 000000005624: D3F30088 1E227582
	v_mfma_f32_16x16x32_fp8_fp8 v[136:139], a[132:133], a[60:61], v[136:139]// 00000000562C: D3F30088 1E227984
	v_mfma_f32_16x16x32_fp8_fp8 v[136:139], a[134:135], a[62:63], v[136:139]// 000000005634: D3F30088 1E227D86
	v_mfma_f32_16x16x32_fp8_fp8 v[152:155], a[136:137], a[56:57], v[152:155]// 00000000563C: D3F30098 1E627188
	v_mfma_f32_16x16x32_fp8_fp8 v[152:155], a[138:139], a[58:59], v[152:155]// 000000005644: D3F30098 1E62758A
	v_mfma_f32_16x16x32_fp8_fp8 v[152:155], a[140:141], a[60:61], v[152:155]// 00000000564C: D3F30098 1E62798C
	v_mfma_f32_16x16x32_fp8_fp8 v[152:155], a[142:143], a[62:63], v[152:155]// 000000005654: D3F30098 1E627D8E
	v_mfma_f32_16x16x32_fp8_fp8 v[168:171], a[144:145], a[56:57], v[168:171]// 00000000565C: D3F300A8 1EA27190
	s_add_u32 s60, 0x180, s80                                  // 000000005664: 803C50FF 00000180
	s_cmp_lt_u32 s60, s81                                      // 00000000566C: BF0A513C
	s_cselect_b32 s57, s57, 0                                  // 000000005670: 85398039
	v_mfma_f32_16x16x32_fp8_fp8 v[168:171], a[146:147], a[58:59], v[168:171]// 000000005674: D3F300A8 1EA27592
	s_add_u32 s60, 0x100, s80                                  // 00000000567C: 803C50FF 00000100
	s_cmp_lt_u32 s60, s81                                      // 000000005684: BF0A513C
	s_cselect_b32 s58, s58, 0                                  // 000000005688: 853A803A
	v_mfma_f32_16x16x32_fp8_fp8 v[168:171], a[148:149], a[60:61], v[168:171]// 00000000568C: D3F300A8 1EA27994
	s_add_u32 s60, 0x100, s80                                  // 000000005694: 803C50FF 00000100
	s_cmp_lt_u32 s60, s81                                      // 00000000569C: BF0A513C
	s_cselect_b32 s83, s83, 0                                  // 0000000056A0: 85538053
	v_mfma_f32_16x16x32_fp8_fp8 v[168:171], a[150:151], a[62:63], v[168:171]// 0000000056A4: D3F300A8 1EA27D96
	s_add_u32 s24, s58, s24                                    // 0000000056AC: 8018183A
	s_addc_u32 s25, 0, s25                                     // 0000000056B0: 82191980
	v_mfma_f32_16x16x32_fp8_fp8 v[184:187], a[152:153], a[56:57], v[184:187]// 0000000056B4: D3F300B8 1EE27198
	s_add_u32 s20, s57, s20                                    // 0000000056BC: 80141439
	s_addc_u32 s21, 0, s21                                     // 0000000056C0: 82151580
	v_mfma_f32_16x16x32_fp8_fp8 v[184:187], a[154:155], a[58:59], v[184:187]// 0000000056C4: D3F300B8 1EE2759A
	s_add_u32 s84, s83, s84                                    // 0000000056CC: 80545453
	s_addc_u32 s85, 0, s85                                     // 0000000056D0: 82555580
	v_mfma_f32_16x16x32_fp8_fp8 v[184:187], a[156:157], a[60:61], v[184:187]// 0000000056D4: D3F300B8 1EE2799C
	v_mfma_f32_16x16x32_fp8_fp8 v[184:187], a[158:159], a[62:63], v[184:187]// 0000000056DC: D3F300B8 1EE27D9E
	s_addk_i32 s80, 0x80                                       // 0000000056E4: B7500080
	s_cmp_lt_i32 s80, s81                                      // 0000000056E8: BF045150
	s_cbranch_scc0 label_0B3D                                  // 0000000056EC: BF840001
	s_branch label_02D2                                        // 0000000056F0: BF82F795

00000000000056f4 <label_0B3D>:
	v_mul_f32_dpp v60, v24, v60 row_newbcast:0 row_mask:0xf bank_mask:0xf// 0000000056F4: 0A7878FA FF015018
	v_mul_f32_dpp v61, v24, v61 row_newbcast:1 row_mask:0xf bank_mask:0xf// 0000000056FC: 0A7A7AFA FF015118
	v_mul_f32_dpp v62, v24, v62 row_newbcast:2 row_mask:0xf bank_mask:0xf// 000000005704: 0A7C7CFA FF015218
	v_mul_f32_dpp v63, v24, v63 row_newbcast:3 row_mask:0xf bank_mask:0xf// 00000000570C: 0A7E7EFA FF015318
	v_mul_f32_dpp v64, v24, v64 row_newbcast:0 row_mask:0xf bank_mask:0xf// 000000005714: 0A8080FA FF015018
	v_mul_f32_dpp v65, v24, v65 row_newbcast:1 row_mask:0xf bank_mask:0xf// 00000000571C: 0A8282FA FF015118
	v_mul_f32_dpp v66, v24, v66 row_newbcast:2 row_mask:0xf bank_mask:0xf// 000000005724: 0A8484FA FF015218
	v_mul_f32_dpp v67, v24, v67 row_newbcast:3 row_mask:0xf bank_mask:0xf// 00000000572C: 0A8686FA FF015318
	v_mul_f32_dpp v68, v24, v68 row_newbcast:0 row_mask:0xf bank_mask:0xf// 000000005734: 0A8888FA FF015018
	v_mul_f32_dpp v69, v24, v69 row_newbcast:1 row_mask:0xf bank_mask:0xf// 00000000573C: 0A8A8AFA FF015118
	v_mul_f32_dpp v70, v24, v70 row_newbcast:2 row_mask:0xf bank_mask:0xf// 000000005744: 0A8C8CFA FF015218
	v_mul_f32_dpp v71, v24, v71 row_newbcast:3 row_mask:0xf bank_mask:0xf// 00000000574C: 0A8E8EFA FF015318
	v_mul_f32_dpp v72, v24, v72 row_newbcast:0 row_mask:0xf bank_mask:0xf// 000000005754: 0A9090FA FF015018
	v_mul_f32_dpp v73, v24, v73 row_newbcast:1 row_mask:0xf bank_mask:0xf// 00000000575C: 0A9292FA FF015118
	v_mul_f32_dpp v74, v24, v74 row_newbcast:2 row_mask:0xf bank_mask:0xf// 000000005764: 0A9494FA FF015218
	v_mul_f32_dpp v75, v24, v75 row_newbcast:3 row_mask:0xf bank_mask:0xf// 00000000576C: 0A9696FA FF015318
	v_mul_f32_dpp v76, v24, v76 row_newbcast:4 row_mask:0xf bank_mask:0xf// 000000005774: 0A9898FA FF015418
	v_mul_f32_dpp v77, v24, v77 row_newbcast:5 row_mask:0xf bank_mask:0xf// 00000000577C: 0A9A9AFA FF015518
	v_mul_f32_dpp v78, v24, v78 row_newbcast:6 row_mask:0xf bank_mask:0xf// 000000005784: 0A9C9CFA FF015618
	v_mul_f32_dpp v79, v24, v79 row_newbcast:7 row_mask:0xf bank_mask:0xf// 00000000578C: 0A9E9EFA FF015718
	v_mul_f32_dpp v80, v24, v80 row_newbcast:4 row_mask:0xf bank_mask:0xf// 000000005794: 0AA0A0FA FF015418
	v_mul_f32_dpp v81, v24, v81 row_newbcast:5 row_mask:0xf bank_mask:0xf// 00000000579C: 0AA2A2FA FF015518
	v_mul_f32_dpp v82, v24, v82 row_newbcast:6 row_mask:0xf bank_mask:0xf// 0000000057A4: 0AA4A4FA FF015618
	v_mul_f32_dpp v83, v24, v83 row_newbcast:7 row_mask:0xf bank_mask:0xf// 0000000057AC: 0AA6A6FA FF015718
	v_mul_f32_dpp v84, v24, v84 row_newbcast:4 row_mask:0xf bank_mask:0xf// 0000000057B4: 0AA8A8FA FF015418
	v_mul_f32_dpp v85, v24, v85 row_newbcast:5 row_mask:0xf bank_mask:0xf// 0000000057BC: 0AAAAAFA FF015518
	v_mul_f32_dpp v86, v24, v86 row_newbcast:6 row_mask:0xf bank_mask:0xf// 0000000057C4: 0AACACFA FF015618
	v_mul_f32_dpp v87, v24, v87 row_newbcast:7 row_mask:0xf bank_mask:0xf// 0000000057CC: 0AAEAEFA FF015718
	v_mul_f32_dpp v88, v24, v88 row_newbcast:4 row_mask:0xf bank_mask:0xf// 0000000057D4: 0AB0B0FA FF015418
	v_mul_f32_dpp v89, v24, v89 row_newbcast:5 row_mask:0xf bank_mask:0xf// 0000000057DC: 0AB2B2FA FF015518
	v_mul_f32_dpp v90, v24, v90 row_newbcast:6 row_mask:0xf bank_mask:0xf// 0000000057E4: 0AB4B4FA FF015618
	v_mul_f32_dpp v91, v24, v91 row_newbcast:7 row_mask:0xf bank_mask:0xf// 0000000057EC: 0AB6B6FA FF015718
	v_mul_f32_dpp v92, v24, v92 row_newbcast:8 row_mask:0xf bank_mask:0xf// 0000000057F4: 0AB8B8FA FF015818
	v_mul_f32_dpp v93, v24, v93 row_newbcast:9 row_mask:0xf bank_mask:0xf// 0000000057FC: 0ABABAFA FF015918
	v_mul_f32_dpp v94, v24, v94 row_newbcast:10 row_mask:0xf bank_mask:0xf// 000000005804: 0ABCBCFA FF015A18
	v_mul_f32_dpp v95, v24, v95 row_newbcast:11 row_mask:0xf bank_mask:0xf// 00000000580C: 0ABEBEFA FF015B18
	v_mul_f32_dpp v96, v24, v96 row_newbcast:8 row_mask:0xf bank_mask:0xf// 000000005814: 0AC0C0FA FF015818
	v_mul_f32_dpp v97, v24, v97 row_newbcast:9 row_mask:0xf bank_mask:0xf// 00000000581C: 0AC2C2FA FF015918
	v_mul_f32_dpp v98, v24, v98 row_newbcast:10 row_mask:0xf bank_mask:0xf// 000000005824: 0AC4C4FA FF015A18
	v_mul_f32_dpp v99, v24, v99 row_newbcast:11 row_mask:0xf bank_mask:0xf// 00000000582C: 0AC6C6FA FF015B18
	v_mul_f32_dpp v100, v24, v100 row_newbcast:8 row_mask:0xf bank_mask:0xf// 000000005834: 0AC8C8FA FF015818
	v_mul_f32_dpp v101, v24, v101 row_newbcast:9 row_mask:0xf bank_mask:0xf// 00000000583C: 0ACACAFA FF015918
	v_mul_f32_dpp v102, v24, v102 row_newbcast:10 row_mask:0xf bank_mask:0xf// 000000005844: 0ACCCCFA FF015A18
	v_mul_f32_dpp v103, v24, v103 row_newbcast:11 row_mask:0xf bank_mask:0xf// 00000000584C: 0ACECEFA FF015B18
	v_mul_f32_dpp v104, v24, v104 row_newbcast:8 row_mask:0xf bank_mask:0xf// 000000005854: 0AD0D0FA FF015818
	v_mul_f32_dpp v105, v24, v105 row_newbcast:9 row_mask:0xf bank_mask:0xf// 00000000585C: 0AD2D2FA FF015918
	v_mul_f32_dpp v106, v24, v106 row_newbcast:10 row_mask:0xf bank_mask:0xf// 000000005864: 0AD4D4FA FF015A18
	v_mul_f32_dpp v107, v24, v107 row_newbcast:11 row_mask:0xf bank_mask:0xf// 00000000586C: 0AD6D6FA FF015B18
	v_mul_f32_dpp v108, v24, v108 row_newbcast:12 row_mask:0xf bank_mask:0xf// 000000005874: 0AD8D8FA FF015C18
	v_mul_f32_dpp v109, v24, v109 row_newbcast:13 row_mask:0xf bank_mask:0xf// 00000000587C: 0ADADAFA FF015D18
	v_mul_f32_dpp v110, v24, v110 row_newbcast:14 row_mask:0xf bank_mask:0xf// 000000005884: 0ADCDCFA FF015E18
	v_mul_f32_dpp v111, v24, v111 row_newbcast:15 row_mask:0xf bank_mask:0xf// 00000000588C: 0ADEDEFA FF015F18
	v_mul_f32_dpp v112, v24, v112 row_newbcast:12 row_mask:0xf bank_mask:0xf// 000000005894: 0AE0E0FA FF015C18
	v_mul_f32_dpp v113, v24, v113 row_newbcast:13 row_mask:0xf bank_mask:0xf// 00000000589C: 0AE2E2FA FF015D18
	v_mul_f32_dpp v114, v24, v114 row_newbcast:14 row_mask:0xf bank_mask:0xf// 0000000058A4: 0AE4E4FA FF015E18
	v_mul_f32_dpp v115, v24, v115 row_newbcast:15 row_mask:0xf bank_mask:0xf// 0000000058AC: 0AE6E6FA FF015F18
	v_mul_f32_dpp v116, v24, v116 row_newbcast:12 row_mask:0xf bank_mask:0xf// 0000000058B4: 0AE8E8FA FF015C18
	v_mul_f32_dpp v117, v24, v117 row_newbcast:13 row_mask:0xf bank_mask:0xf// 0000000058BC: 0AEAEAFA FF015D18
	v_mul_f32_dpp v118, v24, v118 row_newbcast:14 row_mask:0xf bank_mask:0xf// 0000000058C4: 0AECECFA FF015E18
	v_mul_f32_dpp v119, v24, v119 row_newbcast:15 row_mask:0xf bank_mask:0xf// 0000000058CC: 0AEEEEFA FF015F18
	v_mul_f32_dpp v120, v24, v120 row_newbcast:12 row_mask:0xf bank_mask:0xf// 0000000058D4: 0AF0F0FA FF015C18
	v_mul_f32_dpp v121, v24, v121 row_newbcast:13 row_mask:0xf bank_mask:0xf// 0000000058DC: 0AF2F2FA FF015D18
	v_mul_f32_dpp v122, v24, v122 row_newbcast:14 row_mask:0xf bank_mask:0xf// 0000000058E4: 0AF4F4FA FF015E18
	v_mul_f32_dpp v123, v24, v123 row_newbcast:15 row_mask:0xf bank_mask:0xf// 0000000058EC: 0AF6F6FA FF015F18
	v_mul_f32_dpp v124, v27, v124 row_newbcast:0 row_mask:0xf bank_mask:0xf// 0000000058F4: 0AF8F8FA FF01501B
	v_mul_f32_dpp v125, v27, v125 row_newbcast:1 row_mask:0xf bank_mask:0xf// 0000000058FC: 0AFAFAFA FF01511B
	v_mul_f32_dpp v126, v27, v126 row_newbcast:2 row_mask:0xf bank_mask:0xf// 000000005904: 0AFCFCFA FF01521B
	v_mul_f32_dpp v127, v27, v127 row_newbcast:3 row_mask:0xf bank_mask:0xf// 00000000590C: 0AFEFEFA FF01531B
	v_mul_f32_dpp v128, v27, v128 row_newbcast:0 row_mask:0xf bank_mask:0xf// 000000005914: 0B0100FA FF01501B
	v_mul_f32_dpp v129, v27, v129 row_newbcast:1 row_mask:0xf bank_mask:0xf// 00000000591C: 0B0302FA FF01511B
	v_mul_f32_dpp v130, v27, v130 row_newbcast:2 row_mask:0xf bank_mask:0xf// 000000005924: 0B0504FA FF01521B
	v_mul_f32_dpp v131, v27, v131 row_newbcast:3 row_mask:0xf bank_mask:0xf// 00000000592C: 0B0706FA FF01531B
	v_mul_f32_dpp v132, v27, v132 row_newbcast:0 row_mask:0xf bank_mask:0xf// 000000005934: 0B0908FA FF01501B
	v_mul_f32_dpp v133, v27, v133 row_newbcast:1 row_mask:0xf bank_mask:0xf// 00000000593C: 0B0B0AFA FF01511B
	v_mul_f32_dpp v134, v27, v134 row_newbcast:2 row_mask:0xf bank_mask:0xf// 000000005944: 0B0D0CFA FF01521B
	v_mul_f32_dpp v135, v27, v135 row_newbcast:3 row_mask:0xf bank_mask:0xf// 00000000594C: 0B0F0EFA FF01531B
	v_mul_f32_dpp v136, v27, v136 row_newbcast:0 row_mask:0xf bank_mask:0xf// 000000005954: 0B1110FA FF01501B
	v_mul_f32_dpp v137, v27, v137 row_newbcast:1 row_mask:0xf bank_mask:0xf// 00000000595C: 0B1312FA FF01511B
	v_mul_f32_dpp v138, v27, v138 row_newbcast:2 row_mask:0xf bank_mask:0xf// 000000005964: 0B1514FA FF01521B
	v_mul_f32_dpp v139, v27, v139 row_newbcast:3 row_mask:0xf bank_mask:0xf// 00000000596C: 0B1716FA FF01531B
	v_mul_f32_dpp v140, v27, v140 row_newbcast:4 row_mask:0xf bank_mask:0xf// 000000005974: 0B1918FA FF01541B
	v_mul_f32_dpp v141, v27, v141 row_newbcast:5 row_mask:0xf bank_mask:0xf// 00000000597C: 0B1B1AFA FF01551B
	v_mul_f32_dpp v142, v27, v142 row_newbcast:6 row_mask:0xf bank_mask:0xf// 000000005984: 0B1D1CFA FF01561B
	v_mul_f32_dpp v143, v27, v143 row_newbcast:7 row_mask:0xf bank_mask:0xf// 00000000598C: 0B1F1EFA FF01571B
	v_mul_f32_dpp v144, v27, v144 row_newbcast:4 row_mask:0xf bank_mask:0xf// 000000005994: 0B2120FA FF01541B
	v_mul_f32_dpp v145, v27, v145 row_newbcast:5 row_mask:0xf bank_mask:0xf// 00000000599C: 0B2322FA FF01551B
	v_mul_f32_dpp v146, v27, v146 row_newbcast:6 row_mask:0xf bank_mask:0xf// 0000000059A4: 0B2524FA FF01561B
	v_mul_f32_dpp v147, v27, v147 row_newbcast:7 row_mask:0xf bank_mask:0xf// 0000000059AC: 0B2726FA FF01571B
	v_mul_f32_dpp v148, v27, v148 row_newbcast:4 row_mask:0xf bank_mask:0xf// 0000000059B4: 0B2928FA FF01541B
	v_mul_f32_dpp v149, v27, v149 row_newbcast:5 row_mask:0xf bank_mask:0xf// 0000000059BC: 0B2B2AFA FF01551B
	v_mul_f32_dpp v150, v27, v150 row_newbcast:6 row_mask:0xf bank_mask:0xf// 0000000059C4: 0B2D2CFA FF01561B
	v_mul_f32_dpp v151, v27, v151 row_newbcast:7 row_mask:0xf bank_mask:0xf// 0000000059CC: 0B2F2EFA FF01571B
	v_mul_f32_dpp v152, v27, v152 row_newbcast:4 row_mask:0xf bank_mask:0xf// 0000000059D4: 0B3130FA FF01541B
	v_mul_f32_dpp v153, v27, v153 row_newbcast:5 row_mask:0xf bank_mask:0xf// 0000000059DC: 0B3332FA FF01551B
	v_mul_f32_dpp v154, v27, v154 row_newbcast:6 row_mask:0xf bank_mask:0xf// 0000000059E4: 0B3534FA FF01561B
	v_mul_f32_dpp v155, v27, v155 row_newbcast:7 row_mask:0xf bank_mask:0xf// 0000000059EC: 0B3736FA FF01571B
	v_mul_f32_dpp v156, v27, v156 row_newbcast:8 row_mask:0xf bank_mask:0xf// 0000000059F4: 0B3938FA FF01581B
	v_mul_f32_dpp v157, v27, v157 row_newbcast:9 row_mask:0xf bank_mask:0xf// 0000000059FC: 0B3B3AFA FF01591B
	v_mul_f32_dpp v158, v27, v158 row_newbcast:10 row_mask:0xf bank_mask:0xf// 000000005A04: 0B3D3CFA FF015A1B
	v_mul_f32_dpp v159, v27, v159 row_newbcast:11 row_mask:0xf bank_mask:0xf// 000000005A0C: 0B3F3EFA FF015B1B
	v_mul_f32_dpp v160, v27, v160 row_newbcast:8 row_mask:0xf bank_mask:0xf// 000000005A14: 0B4140FA FF01581B
	v_mul_f32_dpp v161, v27, v161 row_newbcast:9 row_mask:0xf bank_mask:0xf// 000000005A1C: 0B4342FA FF01591B
	v_mul_f32_dpp v162, v27, v162 row_newbcast:10 row_mask:0xf bank_mask:0xf// 000000005A24: 0B4544FA FF015A1B
	v_mul_f32_dpp v163, v27, v163 row_newbcast:11 row_mask:0xf bank_mask:0xf// 000000005A2C: 0B4746FA FF015B1B
	v_mul_f32_dpp v164, v27, v164 row_newbcast:8 row_mask:0xf bank_mask:0xf// 000000005A34: 0B4948FA FF01581B
	v_mul_f32_dpp v165, v27, v165 row_newbcast:9 row_mask:0xf bank_mask:0xf// 000000005A3C: 0B4B4AFA FF01591B
	v_mul_f32_dpp v166, v27, v166 row_newbcast:10 row_mask:0xf bank_mask:0xf// 000000005A44: 0B4D4CFA FF015A1B
	v_mul_f32_dpp v167, v27, v167 row_newbcast:11 row_mask:0xf bank_mask:0xf// 000000005A4C: 0B4F4EFA FF015B1B
	v_mul_f32_dpp v168, v27, v168 row_newbcast:8 row_mask:0xf bank_mask:0xf// 000000005A54: 0B5150FA FF01581B
	v_mul_f32_dpp v169, v27, v169 row_newbcast:9 row_mask:0xf bank_mask:0xf// 000000005A5C: 0B5352FA FF01591B
	v_mul_f32_dpp v170, v27, v170 row_newbcast:10 row_mask:0xf bank_mask:0xf// 000000005A64: 0B5554FA FF015A1B
	v_mul_f32_dpp v171, v27, v171 row_newbcast:11 row_mask:0xf bank_mask:0xf// 000000005A6C: 0B5756FA FF015B1B
	v_mul_f32_dpp v172, v27, v172 row_newbcast:12 row_mask:0xf bank_mask:0xf// 000000005A74: 0B5958FA FF015C1B
	v_mul_f32_dpp v173, v27, v173 row_newbcast:13 row_mask:0xf bank_mask:0xf// 000000005A7C: 0B5B5AFA FF015D1B
	v_mul_f32_dpp v174, v27, v174 row_newbcast:14 row_mask:0xf bank_mask:0xf// 000000005A84: 0B5D5CFA FF015E1B
	v_mul_f32_dpp v175, v27, v175 row_newbcast:15 row_mask:0xf bank_mask:0xf// 000000005A8C: 0B5F5EFA FF015F1B
	v_mul_f32_dpp v176, v27, v176 row_newbcast:12 row_mask:0xf bank_mask:0xf// 000000005A94: 0B6160FA FF015C1B
	v_mul_f32_dpp v177, v27, v177 row_newbcast:13 row_mask:0xf bank_mask:0xf// 000000005A9C: 0B6362FA FF015D1B
	v_mul_f32_dpp v178, v27, v178 row_newbcast:14 row_mask:0xf bank_mask:0xf// 000000005AA4: 0B6564FA FF015E1B
	v_mul_f32_dpp v179, v27, v179 row_newbcast:15 row_mask:0xf bank_mask:0xf// 000000005AAC: 0B6766FA FF015F1B
	v_mul_f32_dpp v180, v27, v180 row_newbcast:12 row_mask:0xf bank_mask:0xf// 000000005AB4: 0B6968FA FF015C1B
	v_mul_f32_dpp v181, v27, v181 row_newbcast:13 row_mask:0xf bank_mask:0xf// 000000005ABC: 0B6B6AFA FF015D1B
	v_mul_f32_dpp v182, v27, v182 row_newbcast:14 row_mask:0xf bank_mask:0xf// 000000005AC4: 0B6D6CFA FF015E1B
	v_mul_f32_dpp v183, v27, v183 row_newbcast:15 row_mask:0xf bank_mask:0xf// 000000005ACC: 0B6F6EFA FF015F1B
	v_mul_f32_dpp v184, v27, v184 row_newbcast:12 row_mask:0xf bank_mask:0xf// 000000005AD4: 0B7170FA FF015C1B
	v_mul_f32_dpp v185, v27, v185 row_newbcast:13 row_mask:0xf bank_mask:0xf// 000000005ADC: 0B7372FA FF015D1B
	v_mul_f32_dpp v186, v27, v186 row_newbcast:14 row_mask:0xf bank_mask:0xf// 000000005AE4: 0B7574FA FF015E1B
	v_mul_f32_dpp v187, v27, v187 row_newbcast:15 row_mask:0xf bank_mask:0xf// 000000005AEC: 0B7776FA FF015F1B
	v_mul_f32_e32 v34, v34, v188                               // 000000005AF4: 0A457922
	v_mov_b32_e32 v4, v34                                      // 000000005AF8: 7E080322
	v_mov_b32_e32 v5, v4                                       // 000000005AFC: 7E0A0304
	v_pk_mul_f32 v[60:61], v[4:5], v[60:61]                    // 000000005B00: D3B1403C 18027904
	v_pk_mul_f32 v[124:125], v[4:5], v[124:125]                // 000000005B08: D3B1407C 1802F904
	v_pk_mul_f32 v[62:63], v[4:5], v[62:63]                    // 000000005B10: D3B1403E 18027D04
	v_pk_mul_f32 v[126:127], v[4:5], v[126:127]                // 000000005B18: D3B1407E 1802FD04
	v_pk_mul_f32 v[76:77], v[4:5], v[76:77]                    // 000000005B20: D3B1404C 18029904
	v_pk_mul_f32 v[140:141], v[4:5], v[140:141]                // 000000005B28: D3B1408C 18031904
	v_pk_mul_f32 v[78:79], v[4:5], v[78:79]                    // 000000005B30: D3B1404E 18029D04
	v_pk_mul_f32 v[142:143], v[4:5], v[142:143]                // 000000005B38: D3B1408E 18031D04
	v_pk_mul_f32 v[92:93], v[4:5], v[92:93]                    // 000000005B40: D3B1405C 1802B904
	v_pk_mul_f32 v[156:157], v[4:5], v[156:157]                // 000000005B48: D3B1409C 18033904
	v_pk_mul_f32 v[94:95], v[4:5], v[94:95]                    // 000000005B50: D3B1405E 1802BD04
	v_pk_mul_f32 v[158:159], v[4:5], v[158:159]                // 000000005B58: D3B1409E 18033D04
	v_pk_mul_f32 v[108:109], v[4:5], v[108:109]                // 000000005B60: D3B1406C 1802D904
	v_pk_mul_f32 v[172:173], v[4:5], v[172:173]                // 000000005B68: D3B140AC 18035904
	v_pk_mul_f32 v[110:111], v[4:5], v[110:111]                // 000000005B70: D3B1406E 1802DD04
	v_pk_mul_f32 v[174:175], v[4:5], v[174:175]                // 000000005B78: D3B140AE 18035D04
	v_mul_f32_e32 v35, v35, v189                               // 000000005B80: 0A477B23
	v_mov_b32_e32 v4, v35                                      // 000000005B84: 7E080323
	v_mov_b32_e32 v5, v4                                       // 000000005B88: 7E0A0304
	v_pk_mul_f32 v[64:65], v[4:5], v[64:65]                    // 000000005B8C: D3B14040 18028104
	v_pk_mul_f32 v[128:129], v[4:5], v[128:129]                // 000000005B94: D3B14080 18030104
	v_pk_mul_f32 v[66:67], v[4:5], v[66:67]                    // 000000005B9C: D3B14042 18028504
	v_pk_mul_f32 v[130:131], v[4:5], v[130:131]                // 000000005BA4: D3B14082 18030504
	v_pk_mul_f32 v[80:81], v[4:5], v[80:81]                    // 000000005BAC: D3B14050 1802A104
	v_pk_mul_f32 v[144:145], v[4:5], v[144:145]                // 000000005BB4: D3B14090 18032104
	v_pk_mul_f32 v[82:83], v[4:5], v[82:83]                    // 000000005BBC: D3B14052 1802A504
	v_pk_mul_f32 v[146:147], v[4:5], v[146:147]                // 000000005BC4: D3B14092 18032504
	v_pk_mul_f32 v[96:97], v[4:5], v[96:97]                    // 000000005BCC: D3B14060 1802C104
	v_pk_mul_f32 v[160:161], v[4:5], v[160:161]                // 000000005BD4: D3B140A0 18034104
	v_pk_mul_f32 v[98:99], v[4:5], v[98:99]                    // 000000005BDC: D3B14062 1802C504
	v_pk_mul_f32 v[162:163], v[4:5], v[162:163]                // 000000005BE4: D3B140A2 18034504
	v_pk_mul_f32 v[112:113], v[4:5], v[112:113]                // 000000005BEC: D3B14070 1802E104
	v_pk_mul_f32 v[176:177], v[4:5], v[176:177]                // 000000005BF4: D3B140B0 18036104
	v_pk_mul_f32 v[114:115], v[4:5], v[114:115]                // 000000005BFC: D3B14072 1802E504
	v_pk_mul_f32 v[178:179], v[4:5], v[178:179]                // 000000005C04: D3B140B2 18036504
	v_mul_f32_e32 v36, v36, v190                               // 000000005C0C: 0A497D24
	v_mov_b32_e32 v4, v36                                      // 000000005C10: 7E080324
	v_mov_b32_e32 v5, v4                                       // 000000005C14: 7E0A0304
	v_pk_mul_f32 v[68:69], v[4:5], v[68:69]                    // 000000005C18: D3B14044 18028904
	v_pk_mul_f32 v[132:133], v[4:5], v[132:133]                // 000000005C20: D3B14084 18030904
	v_pk_mul_f32 v[70:71], v[4:5], v[70:71]                    // 000000005C28: D3B14046 18028D04
	v_pk_mul_f32 v[134:135], v[4:5], v[134:135]                // 000000005C30: D3B14086 18030D04
	v_pk_mul_f32 v[84:85], v[4:5], v[84:85]                    // 000000005C38: D3B14054 1802A904
	v_pk_mul_f32 v[148:149], v[4:5], v[148:149]                // 000000005C40: D3B14094 18032904
	v_pk_mul_f32 v[86:87], v[4:5], v[86:87]                    // 000000005C48: D3B14056 1802AD04
	v_pk_mul_f32 v[150:151], v[4:5], v[150:151]                // 000000005C50: D3B14096 18032D04
	v_pk_mul_f32 v[100:101], v[4:5], v[100:101]                // 000000005C58: D3B14064 1802C904
	v_pk_mul_f32 v[164:165], v[4:5], v[164:165]                // 000000005C60: D3B140A4 18034904
	v_pk_mul_f32 v[102:103], v[4:5], v[102:103]                // 000000005C68: D3B14066 1802CD04
	v_pk_mul_f32 v[166:167], v[4:5], v[166:167]                // 000000005C70: D3B140A6 18034D04
	v_pk_mul_f32 v[116:117], v[4:5], v[116:117]                // 000000005C78: D3B14074 1802E904
	v_pk_mul_f32 v[180:181], v[4:5], v[180:181]                // 000000005C80: D3B140B4 18036904
	v_pk_mul_f32 v[118:119], v[4:5], v[118:119]                // 000000005C88: D3B14076 1802ED04
	v_pk_mul_f32 v[182:183], v[4:5], v[182:183]                // 000000005C90: D3B140B6 18036D04
	v_mul_f32_e32 v37, v37, v191                               // 000000005C98: 0A4B7F25
	v_mov_b32_e32 v4, v37                                      // 000000005C9C: 7E080325
	v_mov_b32_e32 v5, v4                                       // 000000005CA0: 7E0A0304
	v_pk_mul_f32 v[72:73], v[4:5], v[72:73]                    // 000000005CA4: D3B14048 18029104
	v_pk_mul_f32 v[136:137], v[4:5], v[136:137]                // 000000005CAC: D3B14088 18031104
	v_pk_mul_f32 v[74:75], v[4:5], v[74:75]                    // 000000005CB4: D3B1404A 18029504
	v_pk_mul_f32 v[138:139], v[4:5], v[138:139]                // 000000005CBC: D3B1408A 18031504
	v_pk_mul_f32 v[88:89], v[4:5], v[88:89]                    // 000000005CC4: D3B14058 1802B104
	v_pk_mul_f32 v[152:153], v[4:5], v[152:153]                // 000000005CCC: D3B14098 18033104
	v_pk_mul_f32 v[90:91], v[4:5], v[90:91]                    // 000000005CD4: D3B1405A 1802B504
	v_pk_mul_f32 v[154:155], v[4:5], v[154:155]                // 000000005CDC: D3B1409A 18033504
	v_pk_mul_f32 v[104:105], v[4:5], v[104:105]                // 000000005CE4: D3B14068 1802D104
	v_pk_mul_f32 v[168:169], v[4:5], v[168:169]                // 000000005CEC: D3B140A8 18035104
	v_pk_mul_f32 v[106:107], v[4:5], v[106:107]                // 000000005CF4: D3B1406A 1802D504
	v_pk_mul_f32 v[170:171], v[4:5], v[170:171]                // 000000005CFC: D3B140AA 18035504
	v_pk_mul_f32 v[120:121], v[4:5], v[120:121]                // 000000005D04: D3B14078 1802F104
	v_pk_mul_f32 v[184:185], v[4:5], v[184:185]                // 000000005D0C: D3B140B8 18037104
	v_pk_mul_f32 v[122:123], v[4:5], v[122:123]                // 000000005D14: D3B1407A 1802F504
	v_pk_mul_f32 v[186:187], v[4:5], v[186:187]                // 000000005D1C: D3B140BA 18037504
	s_cmp_eq_u32 s88, 0                                        // 000000005D24: BF068058
	s_cbranch_scc0 label_14FC                                  // 000000005D28: BF840831
	s_cmp_eq_u32 s89, 0                                        // 000000005D2C: BF068059
	s_cbranch_scc1 label_0F52                                  // 000000005D30: BF850285
	v_mov_b32_e32 v8, v1                                       // 000000005D34: 7E100301
	v_mov_b32_e32 v9, v1                                       // 000000005D38: 7E120301
	s_mov_b32 s60, s6                                          // 000000005D3C: BEBC0006
	s_mov_b32 s61, s6                                          // 000000005D40: BEBD0006
	v_pk_mul_f32 v[4:5], v[60:61], v[60:61]                    // 000000005D44: D3B14004 1802793C
	v_pk_mul_f32 v[6:7], v[62:63], v[62:63]                    // 000000005D4C: D3B14006 18027D3E
	v_pk_fma_f32 v[4:5], v[4:5], s[78:79], v[8:9]              // 000000005D54: D3B04004 1C209D04
	v_pk_fma_f32 v[6:7], v[6:7], s[78:79], v[8:9]              // 000000005D5C: D3B04006 1C209D06
	v_pk_mul_f32 v[4:5], v[4:5], v[60:61]                      // 000000005D64: D3B14004 18027904
	v_pk_mul_f32 v[6:7], v[6:7], v[62:63]                      // 000000005D6C: D3B14006 18027D06
	v_pk_mul_f32 v[4:5], v[4:5], s[60:61]                      // 000000005D74: D3B14004 18007904
	v_pk_mul_f32 v[6:7], v[6:7], s[60:61]                      // 000000005D7C: D3B14006 18007906
	v_exp_f32_e32 v4, v4                                       // 000000005D84: 7E084104
	v_exp_f32_e32 v5, v5                                       // 000000005D88: 7E0A4105
	v_exp_f32_e32 v6, v6                                       // 000000005D8C: 7E0C4106
	v_exp_f32_e32 v7, v7                                       // 000000005D90: 7E0E4107
	v_add_f32_e64 v4, v4, 1.0                                  // 000000005D94: D1010004 0001E504
	v_add_f32_e64 v5, v5, 1.0                                  // 000000005D9C: D1010005 0001E505
	v_add_f32_e64 v6, v6, 1.0                                  // 000000005DA4: D1010006 0001E506
	v_add_f32_e64 v7, v7, 1.0                                  // 000000005DAC: D1010007 0001E507
	v_rcp_f32_e32 v4, v4                                       // 000000005DB4: 7E084504
	v_rcp_f32_e32 v5, v5                                       // 000000005DB8: 7E0A4505
	v_rcp_f32_e32 v6, v6                                       // 000000005DBC: 7E0C4506
	v_rcp_f32_e32 v7, v7                                       // 000000005DC0: 7E0E4507
	v_mul_f32_e32 v60, v60, v4                                 // 000000005DC4: 0A78093C
	v_mul_f32_e32 v61, v61, v5                                 // 000000005DC8: 0A7A0B3D
	v_mul_f32_e32 v62, v62, v6                                 // 000000005DCC: 0A7C0D3E
	v_mul_f32_e32 v63, v63, v7                                 // 000000005DD0: 0A7E0F3F
	v_mul_f32_e32 v60, v60, v124                               // 000000005DD4: 0A78F93C
	v_mul_f32_e32 v61, v61, v125                               // 000000005DD8: 0A7AFB3D
	v_mul_f32_e32 v62, v62, v126                               // 000000005DDC: 0A7CFD3E
	v_mul_f32_e32 v63, v63, v127                               // 000000005DE0: 0A7EFF3F
	v_pk_mul_f32 v[4:5], v[64:65], v[64:65]                    // 000000005DE4: D3B14004 18028140
	v_pk_mul_f32 v[6:7], v[66:67], v[66:67]                    // 000000005DEC: D3B14006 18028542
	v_pk_fma_f32 v[4:5], v[4:5], s[78:79], v[8:9]              // 000000005DF4: D3B04004 1C209D04
	v_pk_fma_f32 v[6:7], v[6:7], s[78:79], v[8:9]              // 000000005DFC: D3B04006 1C209D06
	v_pk_mul_f32 v[4:5], v[4:5], v[64:65]                      // 000000005E04: D3B14004 18028104
	v_pk_mul_f32 v[6:7], v[6:7], v[66:67]                      // 000000005E0C: D3B14006 18028506
	v_pk_mul_f32 v[4:5], v[4:5], s[60:61]                      // 000000005E14: D3B14004 18007904
	v_pk_mul_f32 v[6:7], v[6:7], s[60:61]                      // 000000005E1C: D3B14006 18007906
	v_exp_f32_e32 v4, v4                                       // 000000005E24: 7E084104
	v_exp_f32_e32 v5, v5                                       // 000000005E28: 7E0A4105
	v_exp_f32_e32 v6, v6                                       // 000000005E2C: 7E0C4106
	v_exp_f32_e32 v7, v7                                       // 000000005E30: 7E0E4107
	v_add_f32_e64 v4, v4, 1.0                                  // 000000005E34: D1010004 0001E504
	v_add_f32_e64 v5, v5, 1.0                                  // 000000005E3C: D1010005 0001E505
	v_add_f32_e64 v6, v6, 1.0                                  // 000000005E44: D1010006 0001E506
	v_add_f32_e64 v7, v7, 1.0                                  // 000000005E4C: D1010007 0001E507
	v_rcp_f32_e32 v4, v4                                       // 000000005E54: 7E084504
	v_rcp_f32_e32 v5, v5                                       // 000000005E58: 7E0A4505
	v_rcp_f32_e32 v6, v6                                       // 000000005E5C: 7E0C4506
	v_rcp_f32_e32 v7, v7                                       // 000000005E60: 7E0E4507
	v_mul_f32_e32 v64, v64, v4                                 // 000000005E64: 0A800940
	v_mul_f32_e32 v65, v65, v5                                 // 000000005E68: 0A820B41
	v_mul_f32_e32 v66, v66, v6                                 // 000000005E6C: 0A840D42
	v_mul_f32_e32 v67, v67, v7                                 // 000000005E70: 0A860F43
	v_mul_f32_e32 v64, v64, v128                               // 000000005E74: 0A810140
	v_mul_f32_e32 v65, v65, v129                               // 000000005E78: 0A830341
	v_mul_f32_e32 v66, v66, v130                               // 000000005E7C: 0A850542
	v_mul_f32_e32 v67, v67, v131                               // 000000005E80: 0A870743
	v_pk_mul_f32 v[4:5], v[68:69], v[68:69]                    // 000000005E84: D3B14004 18028944
	v_pk_mul_f32 v[6:7], v[70:71], v[70:71]                    // 000000005E8C: D3B14006 18028D46
	v_pk_fma_f32 v[4:5], v[4:5], s[78:79], v[8:9]              // 000000005E94: D3B04004 1C209D04
	v_pk_fma_f32 v[6:7], v[6:7], s[78:79], v[8:9]              // 000000005E9C: D3B04006 1C209D06
	v_pk_mul_f32 v[4:5], v[4:5], v[68:69]                      // 000000005EA4: D3B14004 18028904
	v_pk_mul_f32 v[6:7], v[6:7], v[70:71]                      // 000000005EAC: D3B14006 18028D06
	v_pk_mul_f32 v[4:5], v[4:5], s[60:61]                      // 000000005EB4: D3B14004 18007904
	v_pk_mul_f32 v[6:7], v[6:7], s[60:61]                      // 000000005EBC: D3B14006 18007906
	v_exp_f32_e32 v4, v4                                       // 000000005EC4: 7E084104
	v_exp_f32_e32 v5, v5                                       // 000000005EC8: 7E0A4105
	v_exp_f32_e32 v6, v6                                       // 000000005ECC: 7E0C4106
	v_exp_f32_e32 v7, v7                                       // 000000005ED0: 7E0E4107
	v_add_f32_e64 v4, v4, 1.0                                  // 000000005ED4: D1010004 0001E504
	v_add_f32_e64 v5, v5, 1.0                                  // 000000005EDC: D1010005 0001E505
	v_add_f32_e64 v6, v6, 1.0                                  // 000000005EE4: D1010006 0001E506
	v_add_f32_e64 v7, v7, 1.0                                  // 000000005EEC: D1010007 0001E507
	v_rcp_f32_e32 v4, v4                                       // 000000005EF4: 7E084504
	v_rcp_f32_e32 v5, v5                                       // 000000005EF8: 7E0A4505
	v_rcp_f32_e32 v6, v6                                       // 000000005EFC: 7E0C4506
	v_rcp_f32_e32 v7, v7                                       // 000000005F00: 7E0E4507
	v_mul_f32_e32 v68, v68, v4                                 // 000000005F04: 0A880944
	v_mul_f32_e32 v69, v69, v5                                 // 000000005F08: 0A8A0B45
	v_mul_f32_e32 v70, v70, v6                                 // 000000005F0C: 0A8C0D46
	v_mul_f32_e32 v71, v71, v7                                 // 000000005F10: 0A8E0F47
	v_mul_f32_e32 v68, v68, v132                               // 000000005F14: 0A890944
	v_mul_f32_e32 v69, v69, v133                               // 000000005F18: 0A8B0B45
	v_mul_f32_e32 v70, v70, v134                               // 000000005F1C: 0A8D0D46
	v_mul_f32_e32 v71, v71, v135                               // 000000005F20: 0A8F0F47
	v_pk_mul_f32 v[4:5], v[72:73], v[72:73]                    // 000000005F24: D3B14004 18029148
	v_pk_mul_f32 v[6:7], v[74:75], v[74:75]                    // 000000005F2C: D3B14006 1802954A
	v_pk_fma_f32 v[4:5], v[4:5], s[78:79], v[8:9]              // 000000005F34: D3B04004 1C209D04
	v_pk_fma_f32 v[6:7], v[6:7], s[78:79], v[8:9]              // 000000005F3C: D3B04006 1C209D06
	v_pk_mul_f32 v[4:5], v[4:5], v[72:73]                      // 000000005F44: D3B14004 18029104
	v_pk_mul_f32 v[6:7], v[6:7], v[74:75]                      // 000000005F4C: D3B14006 18029506
	v_pk_mul_f32 v[4:5], v[4:5], s[60:61]                      // 000000005F54: D3B14004 18007904
	v_pk_mul_f32 v[6:7], v[6:7], s[60:61]                      // 000000005F5C: D3B14006 18007906
	v_exp_f32_e32 v4, v4                                       // 000000005F64: 7E084104
	v_exp_f32_e32 v5, v5                                       // 000000005F68: 7E0A4105
	v_exp_f32_e32 v6, v6                                       // 000000005F6C: 7E0C4106
	v_exp_f32_e32 v7, v7                                       // 000000005F70: 7E0E4107
	v_add_f32_e64 v4, v4, 1.0                                  // 000000005F74: D1010004 0001E504
	v_add_f32_e64 v5, v5, 1.0                                  // 000000005F7C: D1010005 0001E505
	v_add_f32_e64 v6, v6, 1.0                                  // 000000005F84: D1010006 0001E506
	v_add_f32_e64 v7, v7, 1.0                                  // 000000005F8C: D1010007 0001E507
	v_rcp_f32_e32 v4, v4                                       // 000000005F94: 7E084504
	v_rcp_f32_e32 v5, v5                                       // 000000005F98: 7E0A4505
	v_rcp_f32_e32 v6, v6                                       // 000000005F9C: 7E0C4506
	v_rcp_f32_e32 v7, v7                                       // 000000005FA0: 7E0E4507
	v_mul_f32_e32 v72, v72, v4                                 // 000000005FA4: 0A900948
	v_mul_f32_e32 v73, v73, v5                                 // 000000005FA8: 0A920B49
	v_mul_f32_e32 v74, v74, v6                                 // 000000005FAC: 0A940D4A
	v_mul_f32_e32 v75, v75, v7                                 // 000000005FB0: 0A960F4B
	v_mul_f32_e32 v72, v72, v136                               // 000000005FB4: 0A911148
	v_mul_f32_e32 v73, v73, v137                               // 000000005FB8: 0A931349
	v_mul_f32_e32 v74, v74, v138                               // 000000005FBC: 0A95154A
	v_mul_f32_e32 v75, v75, v139                               // 000000005FC0: 0A97174B
	v_pk_mul_f32 v[4:5], v[76:77], v[76:77]                    // 000000005FC4: D3B14004 1802994C
	v_pk_mul_f32 v[6:7], v[78:79], v[78:79]                    // 000000005FCC: D3B14006 18029D4E
	v_pk_fma_f32 v[4:5], v[4:5], s[78:79], v[8:9]              // 000000005FD4: D3B04004 1C209D04
	v_pk_fma_f32 v[6:7], v[6:7], s[78:79], v[8:9]              // 000000005FDC: D3B04006 1C209D06
	v_pk_mul_f32 v[4:5], v[4:5], v[76:77]                      // 000000005FE4: D3B14004 18029904
	v_pk_mul_f32 v[6:7], v[6:7], v[78:79]                      // 000000005FEC: D3B14006 18029D06
	v_pk_mul_f32 v[4:5], v[4:5], s[60:61]                      // 000000005FF4: D3B14004 18007904
	v_pk_mul_f32 v[6:7], v[6:7], s[60:61]                      // 000000005FFC: D3B14006 18007906
	v_exp_f32_e32 v4, v4                                       // 000000006004: 7E084104
	v_exp_f32_e32 v5, v5                                       // 000000006008: 7E0A4105
	v_exp_f32_e32 v6, v6                                       // 00000000600C: 7E0C4106
	v_exp_f32_e32 v7, v7                                       // 000000006010: 7E0E4107
	v_add_f32_e64 v4, v4, 1.0                                  // 000000006014: D1010004 0001E504
	v_add_f32_e64 v5, v5, 1.0                                  // 00000000601C: D1010005 0001E505
	v_add_f32_e64 v6, v6, 1.0                                  // 000000006024: D1010006 0001E506
	v_add_f32_e64 v7, v7, 1.0                                  // 00000000602C: D1010007 0001E507
	v_rcp_f32_e32 v4, v4                                       // 000000006034: 7E084504
	v_rcp_f32_e32 v5, v5                                       // 000000006038: 7E0A4505
	v_rcp_f32_e32 v6, v6                                       // 00000000603C: 7E0C4506
	v_rcp_f32_e32 v7, v7                                       // 000000006040: 7E0E4507
	v_mul_f32_e32 v76, v76, v4                                 // 000000006044: 0A98094C
	v_mul_f32_e32 v77, v77, v5                                 // 000000006048: 0A9A0B4D
	v_mul_f32_e32 v78, v78, v6                                 // 00000000604C: 0A9C0D4E
	v_mul_f32_e32 v79, v79, v7                                 // 000000006050: 0A9E0F4F
	v_mul_f32_e32 v76, v76, v140                               // 000000006054: 0A99194C
	v_mul_f32_e32 v77, v77, v141                               // 000000006058: 0A9B1B4D
	v_mul_f32_e32 v78, v78, v142                               // 00000000605C: 0A9D1D4E
	v_mul_f32_e32 v79, v79, v143                               // 000000006060: 0A9F1F4F
	v_pk_mul_f32 v[4:5], v[80:81], v[80:81]                    // 000000006064: D3B14004 1802A150
	v_pk_mul_f32 v[6:7], v[82:83], v[82:83]                    // 00000000606C: D3B14006 1802A552
	v_pk_fma_f32 v[4:5], v[4:5], s[78:79], v[8:9]              // 000000006074: D3B04004 1C209D04
	v_pk_fma_f32 v[6:7], v[6:7], s[78:79], v[8:9]              // 00000000607C: D3B04006 1C209D06
	v_pk_mul_f32 v[4:5], v[4:5], v[80:81]                      // 000000006084: D3B14004 1802A104
	v_pk_mul_f32 v[6:7], v[6:7], v[82:83]                      // 00000000608C: D3B14006 1802A506
	v_pk_mul_f32 v[4:5], v[4:5], s[60:61]                      // 000000006094: D3B14004 18007904
	v_pk_mul_f32 v[6:7], v[6:7], s[60:61]                      // 00000000609C: D3B14006 18007906
	v_exp_f32_e32 v4, v4                                       // 0000000060A4: 7E084104
	v_exp_f32_e32 v5, v5                                       // 0000000060A8: 7E0A4105
	v_exp_f32_e32 v6, v6                                       // 0000000060AC: 7E0C4106
	v_exp_f32_e32 v7, v7                                       // 0000000060B0: 7E0E4107
	v_add_f32_e64 v4, v4, 1.0                                  // 0000000060B4: D1010004 0001E504
	v_add_f32_e64 v5, v5, 1.0                                  // 0000000060BC: D1010005 0001E505
	v_add_f32_e64 v6, v6, 1.0                                  // 0000000060C4: D1010006 0001E506
	v_add_f32_e64 v7, v7, 1.0                                  // 0000000060CC: D1010007 0001E507
	v_rcp_f32_e32 v4, v4                                       // 0000000060D4: 7E084504
	v_rcp_f32_e32 v5, v5                                       // 0000000060D8: 7E0A4505
	v_rcp_f32_e32 v6, v6                                       // 0000000060DC: 7E0C4506
	v_rcp_f32_e32 v7, v7                                       // 0000000060E0: 7E0E4507
	v_mul_f32_e32 v80, v80, v4                                 // 0000000060E4: 0AA00950
	v_mul_f32_e32 v81, v81, v5                                 // 0000000060E8: 0AA20B51
	v_mul_f32_e32 v82, v82, v6                                 // 0000000060EC: 0AA40D52
	v_mul_f32_e32 v83, v83, v7                                 // 0000000060F0: 0AA60F53
	v_mul_f32_e32 v80, v80, v144                               // 0000000060F4: 0AA12150
	v_mul_f32_e32 v81, v81, v145                               // 0000000060F8: 0AA32351
	v_mul_f32_e32 v82, v82, v146                               // 0000000060FC: 0AA52552
	v_mul_f32_e32 v83, v83, v147                               // 000000006100: 0AA72753
	v_pk_mul_f32 v[4:5], v[84:85], v[84:85]                    // 000000006104: D3B14004 1802A954
	v_pk_mul_f32 v[6:7], v[86:87], v[86:87]                    // 00000000610C: D3B14006 1802AD56
	v_pk_fma_f32 v[4:5], v[4:5], s[78:79], v[8:9]              // 000000006114: D3B04004 1C209D04
	v_pk_fma_f32 v[6:7], v[6:7], s[78:79], v[8:9]              // 00000000611C: D3B04006 1C209D06
	v_pk_mul_f32 v[4:5], v[4:5], v[84:85]                      // 000000006124: D3B14004 1802A904
	v_pk_mul_f32 v[6:7], v[6:7], v[86:87]                      // 00000000612C: D3B14006 1802AD06
	v_pk_mul_f32 v[4:5], v[4:5], s[60:61]                      // 000000006134: D3B14004 18007904
	v_pk_mul_f32 v[6:7], v[6:7], s[60:61]                      // 00000000613C: D3B14006 18007906
	v_exp_f32_e32 v4, v4                                       // 000000006144: 7E084104
	v_exp_f32_e32 v5, v5                                       // 000000006148: 7E0A4105
	v_exp_f32_e32 v6, v6                                       // 00000000614C: 7E0C4106
	v_exp_f32_e32 v7, v7                                       // 000000006150: 7E0E4107
	v_add_f32_e64 v4, v4, 1.0                                  // 000000006154: D1010004 0001E504
	v_add_f32_e64 v5, v5, 1.0                                  // 00000000615C: D1010005 0001E505
	v_add_f32_e64 v6, v6, 1.0                                  // 000000006164: D1010006 0001E506
	v_add_f32_e64 v7, v7, 1.0                                  // 00000000616C: D1010007 0001E507
	v_rcp_f32_e32 v4, v4                                       // 000000006174: 7E084504
	v_rcp_f32_e32 v5, v5                                       // 000000006178: 7E0A4505
	v_rcp_f32_e32 v6, v6                                       // 00000000617C: 7E0C4506
	v_rcp_f32_e32 v7, v7                                       // 000000006180: 7E0E4507
	v_mul_f32_e32 v84, v84, v4                                 // 000000006184: 0AA80954
	v_mul_f32_e32 v85, v85, v5                                 // 000000006188: 0AAA0B55
	v_mul_f32_e32 v86, v86, v6                                 // 00000000618C: 0AAC0D56
	v_mul_f32_e32 v87, v87, v7                                 // 000000006190: 0AAE0F57
	v_mul_f32_e32 v84, v84, v148                               // 000000006194: 0AA92954
	v_mul_f32_e32 v85, v85, v149                               // 000000006198: 0AAB2B55
	v_mul_f32_e32 v86, v86, v150                               // 00000000619C: 0AAD2D56
	v_mul_f32_e32 v87, v87, v151                               // 0000000061A0: 0AAF2F57
	v_pk_mul_f32 v[4:5], v[88:89], v[88:89]                    // 0000000061A4: D3B14004 1802B158
	v_pk_mul_f32 v[6:7], v[90:91], v[90:91]                    // 0000000061AC: D3B14006 1802B55A
	v_pk_fma_f32 v[4:5], v[4:5], s[78:79], v[8:9]              // 0000000061B4: D3B04004 1C209D04
	v_pk_fma_f32 v[6:7], v[6:7], s[78:79], v[8:9]              // 0000000061BC: D3B04006 1C209D06
	v_pk_mul_f32 v[4:5], v[4:5], v[88:89]                      // 0000000061C4: D3B14004 1802B104
	v_pk_mul_f32 v[6:7], v[6:7], v[90:91]                      // 0000000061CC: D3B14006 1802B506
	v_pk_mul_f32 v[4:5], v[4:5], s[60:61]                      // 0000000061D4: D3B14004 18007904
	v_pk_mul_f32 v[6:7], v[6:7], s[60:61]                      // 0000000061DC: D3B14006 18007906
	v_exp_f32_e32 v4, v4                                       // 0000000061E4: 7E084104
	v_exp_f32_e32 v5, v5                                       // 0000000061E8: 7E0A4105
	v_exp_f32_e32 v6, v6                                       // 0000000061EC: 7E0C4106
	v_exp_f32_e32 v7, v7                                       // 0000000061F0: 7E0E4107
	v_add_f32_e64 v4, v4, 1.0                                  // 0000000061F4: D1010004 0001E504
	v_add_f32_e64 v5, v5, 1.0                                  // 0000000061FC: D1010005 0001E505
	v_add_f32_e64 v6, v6, 1.0                                  // 000000006204: D1010006 0001E506
	v_add_f32_e64 v7, v7, 1.0                                  // 00000000620C: D1010007 0001E507
	v_rcp_f32_e32 v4, v4                                       // 000000006214: 7E084504
	v_rcp_f32_e32 v5, v5                                       // 000000006218: 7E0A4505
	v_rcp_f32_e32 v6, v6                                       // 00000000621C: 7E0C4506
	v_rcp_f32_e32 v7, v7                                       // 000000006220: 7E0E4507
	v_mul_f32_e32 v88, v88, v4                                 // 000000006224: 0AB00958
	v_mul_f32_e32 v89, v89, v5                                 // 000000006228: 0AB20B59
	v_mul_f32_e32 v90, v90, v6                                 // 00000000622C: 0AB40D5A
	v_mul_f32_e32 v91, v91, v7                                 // 000000006230: 0AB60F5B
	v_mul_f32_e32 v88, v88, v152                               // 000000006234: 0AB13158
	v_mul_f32_e32 v89, v89, v153                               // 000000006238: 0AB33359
	v_mul_f32_e32 v90, v90, v154                               // 00000000623C: 0AB5355A
	v_mul_f32_e32 v91, v91, v155                               // 000000006240: 0AB7375B
	v_pk_mul_f32 v[4:5], v[92:93], v[92:93]                    // 000000006244: D3B14004 1802B95C
	v_pk_mul_f32 v[6:7], v[94:95], v[94:95]                    // 00000000624C: D3B14006 1802BD5E
	v_pk_fma_f32 v[4:5], v[4:5], s[78:79], v[8:9]              // 000000006254: D3B04004 1C209D04
	v_pk_fma_f32 v[6:7], v[6:7], s[78:79], v[8:9]              // 00000000625C: D3B04006 1C209D06
	v_pk_mul_f32 v[4:5], v[4:5], v[92:93]                      // 000000006264: D3B14004 1802B904
	v_pk_mul_f32 v[6:7], v[6:7], v[94:95]                      // 00000000626C: D3B14006 1802BD06
	v_pk_mul_f32 v[4:5], v[4:5], s[60:61]                      // 000000006274: D3B14004 18007904
	v_pk_mul_f32 v[6:7], v[6:7], s[60:61]                      // 00000000627C: D3B14006 18007906
	v_exp_f32_e32 v4, v4                                       // 000000006284: 7E084104
	v_exp_f32_e32 v5, v5                                       // 000000006288: 7E0A4105
	v_exp_f32_e32 v6, v6                                       // 00000000628C: 7E0C4106
	v_exp_f32_e32 v7, v7                                       // 000000006290: 7E0E4107
	v_add_f32_e64 v4, v4, 1.0                                  // 000000006294: D1010004 0001E504
	v_add_f32_e64 v5, v5, 1.0                                  // 00000000629C: D1010005 0001E505
	v_add_f32_e64 v6, v6, 1.0                                  // 0000000062A4: D1010006 0001E506
	v_add_f32_e64 v7, v7, 1.0                                  // 0000000062AC: D1010007 0001E507
	v_rcp_f32_e32 v4, v4                                       // 0000000062B4: 7E084504
	v_rcp_f32_e32 v5, v5                                       // 0000000062B8: 7E0A4505
	v_rcp_f32_e32 v6, v6                                       // 0000000062BC: 7E0C4506
	v_rcp_f32_e32 v7, v7                                       // 0000000062C0: 7E0E4507
	v_mul_f32_e32 v92, v92, v4                                 // 0000000062C4: 0AB8095C
	v_mul_f32_e32 v93, v93, v5                                 // 0000000062C8: 0ABA0B5D
	v_mul_f32_e32 v94, v94, v6                                 // 0000000062CC: 0ABC0D5E
	v_mul_f32_e32 v95, v95, v7                                 // 0000000062D0: 0ABE0F5F
	v_mul_f32_e32 v92, v92, v156                               // 0000000062D4: 0AB9395C
	v_mul_f32_e32 v93, v93, v157                               // 0000000062D8: 0ABB3B5D
	v_mul_f32_e32 v94, v94, v158                               // 0000000062DC: 0ABD3D5E
	v_mul_f32_e32 v95, v95, v159                               // 0000000062E0: 0ABF3F5F
	v_pk_mul_f32 v[4:5], v[96:97], v[96:97]                    // 0000000062E4: D3B14004 1802C160
	v_pk_mul_f32 v[6:7], v[98:99], v[98:99]                    // 0000000062EC: D3B14006 1802C562
	v_pk_fma_f32 v[4:5], v[4:5], s[78:79], v[8:9]              // 0000000062F4: D3B04004 1C209D04
	v_pk_fma_f32 v[6:7], v[6:7], s[78:79], v[8:9]              // 0000000062FC: D3B04006 1C209D06
	v_pk_mul_f32 v[4:5], v[4:5], v[96:97]                      // 000000006304: D3B14004 1802C104
	v_pk_mul_f32 v[6:7], v[6:7], v[98:99]                      // 00000000630C: D3B14006 1802C506
	v_pk_mul_f32 v[4:5], v[4:5], s[60:61]                      // 000000006314: D3B14004 18007904
	v_pk_mul_f32 v[6:7], v[6:7], s[60:61]                      // 00000000631C: D3B14006 18007906
	v_exp_f32_e32 v4, v4                                       // 000000006324: 7E084104
	v_exp_f32_e32 v5, v5                                       // 000000006328: 7E0A4105
	v_exp_f32_e32 v6, v6                                       // 00000000632C: 7E0C4106
	v_exp_f32_e32 v7, v7                                       // 000000006330: 7E0E4107
	v_add_f32_e64 v4, v4, 1.0                                  // 000000006334: D1010004 0001E504
	v_add_f32_e64 v5, v5, 1.0                                  // 00000000633C: D1010005 0001E505
	v_add_f32_e64 v6, v6, 1.0                                  // 000000006344: D1010006 0001E506
	v_add_f32_e64 v7, v7, 1.0                                  // 00000000634C: D1010007 0001E507
	v_rcp_f32_e32 v4, v4                                       // 000000006354: 7E084504
	v_rcp_f32_e32 v5, v5                                       // 000000006358: 7E0A4505
	v_rcp_f32_e32 v6, v6                                       // 00000000635C: 7E0C4506
	v_rcp_f32_e32 v7, v7                                       // 000000006360: 7E0E4507
	v_mul_f32_e32 v96, v96, v4                                 // 000000006364: 0AC00960
	v_mul_f32_e32 v97, v97, v5                                 // 000000006368: 0AC20B61
	v_mul_f32_e32 v98, v98, v6                                 // 00000000636C: 0AC40D62
	v_mul_f32_e32 v99, v99, v7                                 // 000000006370: 0AC60F63
	v_mul_f32_e32 v96, v96, v160                               // 000000006374: 0AC14160
	v_mul_f32_e32 v97, v97, v161                               // 000000006378: 0AC34361
	v_mul_f32_e32 v98, v98, v162                               // 00000000637C: 0AC54562
	v_mul_f32_e32 v99, v99, v163                               // 000000006380: 0AC74763
	v_pk_mul_f32 v[4:5], v[100:101], v[100:101]                // 000000006384: D3B14004 1802C964
	v_pk_mul_f32 v[6:7], v[102:103], v[102:103]                // 00000000638C: D3B14006 1802CD66
	v_pk_fma_f32 v[4:5], v[4:5], s[78:79], v[8:9]              // 000000006394: D3B04004 1C209D04
	v_pk_fma_f32 v[6:7], v[6:7], s[78:79], v[8:9]              // 00000000639C: D3B04006 1C209D06
	v_pk_mul_f32 v[4:5], v[4:5], v[100:101]                    // 0000000063A4: D3B14004 1802C904
	v_pk_mul_f32 v[6:7], v[6:7], v[102:103]                    // 0000000063AC: D3B14006 1802CD06
	v_pk_mul_f32 v[4:5], v[4:5], s[60:61]                      // 0000000063B4: D3B14004 18007904
	v_pk_mul_f32 v[6:7], v[6:7], s[60:61]                      // 0000000063BC: D3B14006 18007906
	v_exp_f32_e32 v4, v4                                       // 0000000063C4: 7E084104
	v_exp_f32_e32 v5, v5                                       // 0000000063C8: 7E0A4105
	v_exp_f32_e32 v6, v6                                       // 0000000063CC: 7E0C4106
	v_exp_f32_e32 v7, v7                                       // 0000000063D0: 7E0E4107
	v_add_f32_e64 v4, v4, 1.0                                  // 0000000063D4: D1010004 0001E504
	v_add_f32_e64 v5, v5, 1.0                                  // 0000000063DC: D1010005 0001E505
	v_add_f32_e64 v6, v6, 1.0                                  // 0000000063E4: D1010006 0001E506
	v_add_f32_e64 v7, v7, 1.0                                  // 0000000063EC: D1010007 0001E507
	v_rcp_f32_e32 v4, v4                                       // 0000000063F4: 7E084504
	v_rcp_f32_e32 v5, v5                                       // 0000000063F8: 7E0A4505
	v_rcp_f32_e32 v6, v6                                       // 0000000063FC: 7E0C4506
	v_rcp_f32_e32 v7, v7                                       // 000000006400: 7E0E4507
	v_mul_f32_e32 v100, v100, v4                               // 000000006404: 0AC80964
	v_mul_f32_e32 v101, v101, v5                               // 000000006408: 0ACA0B65
	v_mul_f32_e32 v102, v102, v6                               // 00000000640C: 0ACC0D66
	v_mul_f32_e32 v103, v103, v7                               // 000000006410: 0ACE0F67
	v_mul_f32_e32 v100, v100, v164                             // 000000006414: 0AC94964
	v_mul_f32_e32 v101, v101, v165                             // 000000006418: 0ACB4B65
	v_mul_f32_e32 v102, v102, v166                             // 00000000641C: 0ACD4D66
	v_mul_f32_e32 v103, v103, v167                             // 000000006420: 0ACF4F67
	v_pk_mul_f32 v[4:5], v[104:105], v[104:105]                // 000000006424: D3B14004 1802D168
	v_pk_mul_f32 v[6:7], v[106:107], v[106:107]                // 00000000642C: D3B14006 1802D56A
	v_pk_fma_f32 v[4:5], v[4:5], s[78:79], v[8:9]              // 000000006434: D3B04004 1C209D04
	v_pk_fma_f32 v[6:7], v[6:7], s[78:79], v[8:9]              // 00000000643C: D3B04006 1C209D06
	v_pk_mul_f32 v[4:5], v[4:5], v[104:105]                    // 000000006444: D3B14004 1802D104
	v_pk_mul_f32 v[6:7], v[6:7], v[106:107]                    // 00000000644C: D3B14006 1802D506
	v_pk_mul_f32 v[4:5], v[4:5], s[60:61]                      // 000000006454: D3B14004 18007904
	v_pk_mul_f32 v[6:7], v[6:7], s[60:61]                      // 00000000645C: D3B14006 18007906
	v_exp_f32_e32 v4, v4                                       // 000000006464: 7E084104
	v_exp_f32_e32 v5, v5                                       // 000000006468: 7E0A4105
	v_exp_f32_e32 v6, v6                                       // 00000000646C: 7E0C4106
	v_exp_f32_e32 v7, v7                                       // 000000006470: 7E0E4107
	v_add_f32_e64 v4, v4, 1.0                                  // 000000006474: D1010004 0001E504
	v_add_f32_e64 v5, v5, 1.0                                  // 00000000647C: D1010005 0001E505
	v_add_f32_e64 v6, v6, 1.0                                  // 000000006484: D1010006 0001E506
	v_add_f32_e64 v7, v7, 1.0                                  // 00000000648C: D1010007 0001E507
	v_rcp_f32_e32 v4, v4                                       // 000000006494: 7E084504
	v_rcp_f32_e32 v5, v5                                       // 000000006498: 7E0A4505
	v_rcp_f32_e32 v6, v6                                       // 00000000649C: 7E0C4506
	v_rcp_f32_e32 v7, v7                                       // 0000000064A0: 7E0E4507
	v_mul_f32_e32 v104, v104, v4                               // 0000000064A4: 0AD00968
	v_mul_f32_e32 v105, v105, v5                               // 0000000064A8: 0AD20B69
	v_mul_f32_e32 v106, v106, v6                               // 0000000064AC: 0AD40D6A
	v_mul_f32_e32 v107, v107, v7                               // 0000000064B0: 0AD60F6B
	v_mul_f32_e32 v104, v104, v168                             // 0000000064B4: 0AD15168
	v_mul_f32_e32 v105, v105, v169                             // 0000000064B8: 0AD35369
	v_mul_f32_e32 v106, v106, v170                             // 0000000064BC: 0AD5556A
	v_mul_f32_e32 v107, v107, v171                             // 0000000064C0: 0AD7576B
	v_pk_mul_f32 v[4:5], v[108:109], v[108:109]                // 0000000064C4: D3B14004 1802D96C
	v_pk_mul_f32 v[6:7], v[110:111], v[110:111]                // 0000000064CC: D3B14006 1802DD6E
	v_pk_fma_f32 v[4:5], v[4:5], s[78:79], v[8:9]              // 0000000064D4: D3B04004 1C209D04
	v_pk_fma_f32 v[6:7], v[6:7], s[78:79], v[8:9]              // 0000000064DC: D3B04006 1C209D06
	v_pk_mul_f32 v[4:5], v[4:5], v[108:109]                    // 0000000064E4: D3B14004 1802D904
	v_pk_mul_f32 v[6:7], v[6:7], v[110:111]                    // 0000000064EC: D3B14006 1802DD06
	v_pk_mul_f32 v[4:5], v[4:5], s[60:61]                      // 0000000064F4: D3B14004 18007904
	v_pk_mul_f32 v[6:7], v[6:7], s[60:61]                      // 0000000064FC: D3B14006 18007906
	v_exp_f32_e32 v4, v4                                       // 000000006504: 7E084104
	v_exp_f32_e32 v5, v5                                       // 000000006508: 7E0A4105
	v_exp_f32_e32 v6, v6                                       // 00000000650C: 7E0C4106
	v_exp_f32_e32 v7, v7                                       // 000000006510: 7E0E4107
	v_add_f32_e64 v4, v4, 1.0                                  // 000000006514: D1010004 0001E504
	v_add_f32_e64 v5, v5, 1.0                                  // 00000000651C: D1010005 0001E505
	v_add_f32_e64 v6, v6, 1.0                                  // 000000006524: D1010006 0001E506
	v_add_f32_e64 v7, v7, 1.0                                  // 00000000652C: D1010007 0001E507
	v_rcp_f32_e32 v4, v4                                       // 000000006534: 7E084504
	v_rcp_f32_e32 v5, v5                                       // 000000006538: 7E0A4505
	v_rcp_f32_e32 v6, v6                                       // 00000000653C: 7E0C4506
	v_rcp_f32_e32 v7, v7                                       // 000000006540: 7E0E4507
	v_mul_f32_e32 v108, v108, v4                               // 000000006544: 0AD8096C
	v_mul_f32_e32 v109, v109, v5                               // 000000006548: 0ADA0B6D
	v_mul_f32_e32 v110, v110, v6                               // 00000000654C: 0ADC0D6E
	v_mul_f32_e32 v111, v111, v7                               // 000000006550: 0ADE0F6F
	v_mul_f32_e32 v108, v108, v172                             // 000000006554: 0AD9596C
	v_mul_f32_e32 v109, v109, v173                             // 000000006558: 0ADB5B6D
	v_mul_f32_e32 v110, v110, v174                             // 00000000655C: 0ADD5D6E
	v_mul_f32_e32 v111, v111, v175                             // 000000006560: 0ADF5F6F
	v_pk_mul_f32 v[4:5], v[112:113], v[112:113]                // 000000006564: D3B14004 1802E170
	v_pk_mul_f32 v[6:7], v[114:115], v[114:115]                // 00000000656C: D3B14006 1802E572
	v_pk_fma_f32 v[4:5], v[4:5], s[78:79], v[8:9]              // 000000006574: D3B04004 1C209D04
	v_pk_fma_f32 v[6:7], v[6:7], s[78:79], v[8:9]              // 00000000657C: D3B04006 1C209D06
	v_pk_mul_f32 v[4:5], v[4:5], v[112:113]                    // 000000006584: D3B14004 1802E104
	v_pk_mul_f32 v[6:7], v[6:7], v[114:115]                    // 00000000658C: D3B14006 1802E506
	v_pk_mul_f32 v[4:5], v[4:5], s[60:61]                      // 000000006594: D3B14004 18007904
	v_pk_mul_f32 v[6:7], v[6:7], s[60:61]                      // 00000000659C: D3B14006 18007906
	v_exp_f32_e32 v4, v4                                       // 0000000065A4: 7E084104
	v_exp_f32_e32 v5, v5                                       // 0000000065A8: 7E0A4105
	v_exp_f32_e32 v6, v6                                       // 0000000065AC: 7E0C4106
	v_exp_f32_e32 v7, v7                                       // 0000000065B0: 7E0E4107
	v_add_f32_e64 v4, v4, 1.0                                  // 0000000065B4: D1010004 0001E504
	v_add_f32_e64 v5, v5, 1.0                                  // 0000000065BC: D1010005 0001E505
	v_add_f32_e64 v6, v6, 1.0                                  // 0000000065C4: D1010006 0001E506
	v_add_f32_e64 v7, v7, 1.0                                  // 0000000065CC: D1010007 0001E507
	v_rcp_f32_e32 v4, v4                                       // 0000000065D4: 7E084504
	v_rcp_f32_e32 v5, v5                                       // 0000000065D8: 7E0A4505
	v_rcp_f32_e32 v6, v6                                       // 0000000065DC: 7E0C4506
	v_rcp_f32_e32 v7, v7                                       // 0000000065E0: 7E0E4507
	v_mul_f32_e32 v112, v112, v4                               // 0000000065E4: 0AE00970
	v_mul_f32_e32 v113, v113, v5                               // 0000000065E8: 0AE20B71
	v_mul_f32_e32 v114, v114, v6                               // 0000000065EC: 0AE40D72
	v_mul_f32_e32 v115, v115, v7                               // 0000000065F0: 0AE60F73
	v_mul_f32_e32 v112, v112, v176                             // 0000000065F4: 0AE16170
	v_mul_f32_e32 v113, v113, v177                             // 0000000065F8: 0AE36371
	v_mul_f32_e32 v114, v114, v178                             // 0000000065FC: 0AE56572
	v_mul_f32_e32 v115, v115, v179                             // 000000006600: 0AE76773
	v_pk_mul_f32 v[4:5], v[116:117], v[116:117]                // 000000006604: D3B14004 1802E974
	v_pk_mul_f32 v[6:7], v[118:119], v[118:119]                // 00000000660C: D3B14006 1802ED76
	v_pk_fma_f32 v[4:5], v[4:5], s[78:79], v[8:9]              // 000000006614: D3B04004 1C209D04
	v_pk_fma_f32 v[6:7], v[6:7], s[78:79], v[8:9]              // 00000000661C: D3B04006 1C209D06
	v_pk_mul_f32 v[4:5], v[4:5], v[116:117]                    // 000000006624: D3B14004 1802E904
	v_pk_mul_f32 v[6:7], v[6:7], v[118:119]                    // 00000000662C: D3B14006 1802ED06
	v_pk_mul_f32 v[4:5], v[4:5], s[60:61]                      // 000000006634: D3B14004 18007904
	v_pk_mul_f32 v[6:7], v[6:7], s[60:61]                      // 00000000663C: D3B14006 18007906
	v_exp_f32_e32 v4, v4                                       // 000000006644: 7E084104
	v_exp_f32_e32 v5, v5                                       // 000000006648: 7E0A4105
	v_exp_f32_e32 v6, v6                                       // 00000000664C: 7E0C4106
	v_exp_f32_e32 v7, v7                                       // 000000006650: 7E0E4107
	v_add_f32_e64 v4, v4, 1.0                                  // 000000006654: D1010004 0001E504
	v_add_f32_e64 v5, v5, 1.0                                  // 00000000665C: D1010005 0001E505
	v_add_f32_e64 v6, v6, 1.0                                  // 000000006664: D1010006 0001E506
	v_add_f32_e64 v7, v7, 1.0                                  // 00000000666C: D1010007 0001E507
	v_rcp_f32_e32 v4, v4                                       // 000000006674: 7E084504
	v_rcp_f32_e32 v5, v5                                       // 000000006678: 7E0A4505
	v_rcp_f32_e32 v6, v6                                       // 00000000667C: 7E0C4506
	v_rcp_f32_e32 v7, v7                                       // 000000006680: 7E0E4507
	v_mul_f32_e32 v116, v116, v4                               // 000000006684: 0AE80974
	v_mul_f32_e32 v117, v117, v5                               // 000000006688: 0AEA0B75
	v_mul_f32_e32 v118, v118, v6                               // 00000000668C: 0AEC0D76
	v_mul_f32_e32 v119, v119, v7                               // 000000006690: 0AEE0F77
	v_mul_f32_e32 v116, v116, v180                             // 000000006694: 0AE96974
	v_mul_f32_e32 v117, v117, v181                             // 000000006698: 0AEB6B75
	v_mul_f32_e32 v118, v118, v182                             // 00000000669C: 0AED6D76
	v_mul_f32_e32 v119, v119, v183                             // 0000000066A0: 0AEF6F77
	v_pk_mul_f32 v[4:5], v[120:121], v[120:121]                // 0000000066A4: D3B14004 1802F178
	v_pk_mul_f32 v[6:7], v[122:123], v[122:123]                // 0000000066AC: D3B14006 1802F57A
	v_pk_fma_f32 v[4:5], v[4:5], s[78:79], v[8:9]              // 0000000066B4: D3B04004 1C209D04
	v_pk_fma_f32 v[6:7], v[6:7], s[78:79], v[8:9]              // 0000000066BC: D3B04006 1C209D06
	v_pk_mul_f32 v[4:5], v[4:5], v[120:121]                    // 0000000066C4: D3B14004 1802F104
	v_pk_mul_f32 v[6:7], v[6:7], v[122:123]                    // 0000000066CC: D3B14006 1802F506
	v_pk_mul_f32 v[4:5], v[4:5], s[60:61]                      // 0000000066D4: D3B14004 18007904
	v_pk_mul_f32 v[6:7], v[6:7], s[60:61]                      // 0000000066DC: D3B14006 18007906
	v_exp_f32_e32 v4, v4                                       // 0000000066E4: 7E084104
	v_exp_f32_e32 v5, v5                                       // 0000000066E8: 7E0A4105
	v_exp_f32_e32 v6, v6                                       // 0000000066EC: 7E0C4106
	v_exp_f32_e32 v7, v7                                       // 0000000066F0: 7E0E4107
	v_add_f32_e64 v4, v4, 1.0                                  // 0000000066F4: D1010004 0001E504
	v_add_f32_e64 v5, v5, 1.0                                  // 0000000066FC: D1010005 0001E505
	v_add_f32_e64 v6, v6, 1.0                                  // 000000006704: D1010006 0001E506
	v_add_f32_e64 v7, v7, 1.0                                  // 00000000670C: D1010007 0001E507
	v_rcp_f32_e32 v4, v4                                       // 000000006714: 7E084504
	v_rcp_f32_e32 v5, v5                                       // 000000006718: 7E0A4505
	v_rcp_f32_e32 v6, v6                                       // 00000000671C: 7E0C4506
	v_rcp_f32_e32 v7, v7                                       // 000000006720: 7E0E4507
	v_mul_f32_e32 v120, v120, v4                               // 000000006724: 0AF00978
	v_mul_f32_e32 v121, v121, v5                               // 000000006728: 0AF20B79
	v_mul_f32_e32 v122, v122, v6                               // 00000000672C: 0AF40D7A
	v_mul_f32_e32 v123, v123, v7                               // 000000006730: 0AF60F7B
	v_mul_f32_e32 v120, v120, v184                             // 000000006734: 0AF17178
	v_mul_f32_e32 v121, v121, v185                             // 000000006738: 0AF37379
	v_mul_f32_e32 v122, v122, v186                             // 00000000673C: 0AF5757A
	v_mul_f32_e32 v123, v123, v187                             // 000000006740: 0AF7777B
	s_branch label_1152                                        // 000000006744: BF820200

0000000000006748 <label_0F52>:
	v_mul_f32_e64 v4, -v60, s6                                 // 000000006748: D1050004 20000D3C
	v_mul_f32_e64 v5, -v61, s6                                 // 000000006750: D1050005 20000D3D
	v_mul_f32_e64 v6, -v62, s6                                 // 000000006758: D1050006 20000D3E
	v_mul_f32_e64 v7, -v63, s6                                 // 000000006760: D1050007 20000D3F
	v_exp_f32_e32 v4, v4                                       // 000000006768: 7E084104
	v_exp_f32_e32 v5, v5                                       // 00000000676C: 7E0A4105
	v_exp_f32_e32 v6, v6                                       // 000000006770: 7E0C4106
	v_exp_f32_e32 v7, v7                                       // 000000006774: 7E0E4107
	v_add_f32_e64 v4, v4, 1.0                                  // 000000006778: D1010004 0001E504
	v_add_f32_e64 v5, v5, 1.0                                  // 000000006780: D1010005 0001E505
	v_add_f32_e64 v6, v6, 1.0                                  // 000000006788: D1010006 0001E506
	v_add_f32_e64 v7, v7, 1.0                                  // 000000006790: D1010007 0001E507
	v_rcp_f32_e32 v4, v4                                       // 000000006798: 7E084504
	v_rcp_f32_e32 v5, v5                                       // 00000000679C: 7E0A4505
	v_rcp_f32_e32 v6, v6                                       // 0000000067A0: 7E0C4506
	v_rcp_f32_e32 v7, v7                                       // 0000000067A4: 7E0E4507
	v_mul_f32_e32 v60, v60, v4                                 // 0000000067A8: 0A78093C
	v_mul_f32_e32 v61, v61, v5                                 // 0000000067AC: 0A7A0B3D
	v_mul_f32_e32 v62, v62, v6                                 // 0000000067B0: 0A7C0D3E
	v_mul_f32_e32 v63, v63, v7                                 // 0000000067B4: 0A7E0F3F
	v_mul_f32_e32 v60, v60, v124                               // 0000000067B8: 0A78F93C
	v_mul_f32_e32 v61, v61, v125                               // 0000000067BC: 0A7AFB3D
	v_mul_f32_e32 v62, v62, v126                               // 0000000067C0: 0A7CFD3E
	v_mul_f32_e32 v63, v63, v127                               // 0000000067C4: 0A7EFF3F
	v_mul_f32_e64 v4, -v64, s6                                 // 0000000067C8: D1050004 20000D40
	v_mul_f32_e64 v5, -v65, s6                                 // 0000000067D0: D1050005 20000D41
	v_mul_f32_e64 v6, -v66, s6                                 // 0000000067D8: D1050006 20000D42
	v_mul_f32_e64 v7, -v67, s6                                 // 0000000067E0: D1050007 20000D43
	v_exp_f32_e32 v4, v4                                       // 0000000067E8: 7E084104
	v_exp_f32_e32 v5, v5                                       // 0000000067EC: 7E0A4105
	v_exp_f32_e32 v6, v6                                       // 0000000067F0: 7E0C4106
	v_exp_f32_e32 v7, v7                                       // 0000000067F4: 7E0E4107
	v_add_f32_e64 v4, v4, 1.0                                  // 0000000067F8: D1010004 0001E504
	v_add_f32_e64 v5, v5, 1.0                                  // 000000006800: D1010005 0001E505
	v_add_f32_e64 v6, v6, 1.0                                  // 000000006808: D1010006 0001E506
	v_add_f32_e64 v7, v7, 1.0                                  // 000000006810: D1010007 0001E507
	v_rcp_f32_e32 v4, v4                                       // 000000006818: 7E084504
	v_rcp_f32_e32 v5, v5                                       // 00000000681C: 7E0A4505
	v_rcp_f32_e32 v6, v6                                       // 000000006820: 7E0C4506
	v_rcp_f32_e32 v7, v7                                       // 000000006824: 7E0E4507
	v_mul_f32_e32 v64, v64, v4                                 // 000000006828: 0A800940
	v_mul_f32_e32 v65, v65, v5                                 // 00000000682C: 0A820B41
	v_mul_f32_e32 v66, v66, v6                                 // 000000006830: 0A840D42
	v_mul_f32_e32 v67, v67, v7                                 // 000000006834: 0A860F43
	v_mul_f32_e32 v64, v64, v128                               // 000000006838: 0A810140
	v_mul_f32_e32 v65, v65, v129                               // 00000000683C: 0A830341
	v_mul_f32_e32 v66, v66, v130                               // 000000006840: 0A850542
	v_mul_f32_e32 v67, v67, v131                               // 000000006844: 0A870743
	v_mul_f32_e64 v4, -v68, s6                                 // 000000006848: D1050004 20000D44
	v_mul_f32_e64 v5, -v69, s6                                 // 000000006850: D1050005 20000D45
	v_mul_f32_e64 v6, -v70, s6                                 // 000000006858: D1050006 20000D46
	v_mul_f32_e64 v7, -v71, s6                                 // 000000006860: D1050007 20000D47
	v_exp_f32_e32 v4, v4                                       // 000000006868: 7E084104
	v_exp_f32_e32 v5, v5                                       // 00000000686C: 7E0A4105
	v_exp_f32_e32 v6, v6                                       // 000000006870: 7E0C4106
	v_exp_f32_e32 v7, v7                                       // 000000006874: 7E0E4107
	v_add_f32_e64 v4, v4, 1.0                                  // 000000006878: D1010004 0001E504
	v_add_f32_e64 v5, v5, 1.0                                  // 000000006880: D1010005 0001E505
	v_add_f32_e64 v6, v6, 1.0                                  // 000000006888: D1010006 0001E506
	v_add_f32_e64 v7, v7, 1.0                                  // 000000006890: D1010007 0001E507
	v_rcp_f32_e32 v4, v4                                       // 000000006898: 7E084504
	v_rcp_f32_e32 v5, v5                                       // 00000000689C: 7E0A4505
	v_rcp_f32_e32 v6, v6                                       // 0000000068A0: 7E0C4506
	v_rcp_f32_e32 v7, v7                                       // 0000000068A4: 7E0E4507
	v_mul_f32_e32 v68, v68, v4                                 // 0000000068A8: 0A880944
	v_mul_f32_e32 v69, v69, v5                                 // 0000000068AC: 0A8A0B45
	v_mul_f32_e32 v70, v70, v6                                 // 0000000068B0: 0A8C0D46
	v_mul_f32_e32 v71, v71, v7                                 // 0000000068B4: 0A8E0F47
	v_mul_f32_e32 v68, v68, v132                               // 0000000068B8: 0A890944
	v_mul_f32_e32 v69, v69, v133                               // 0000000068BC: 0A8B0B45
	v_mul_f32_e32 v70, v70, v134                               // 0000000068C0: 0A8D0D46
	v_mul_f32_e32 v71, v71, v135                               // 0000000068C4: 0A8F0F47
	v_mul_f32_e64 v4, -v72, s6                                 // 0000000068C8: D1050004 20000D48
	v_mul_f32_e64 v5, -v73, s6                                 // 0000000068D0: D1050005 20000D49
	v_mul_f32_e64 v6, -v74, s6                                 // 0000000068D8: D1050006 20000D4A
	v_mul_f32_e64 v7, -v75, s6                                 // 0000000068E0: D1050007 20000D4B
	v_exp_f32_e32 v4, v4                                       // 0000000068E8: 7E084104
	v_exp_f32_e32 v5, v5                                       // 0000000068EC: 7E0A4105
	v_exp_f32_e32 v6, v6                                       // 0000000068F0: 7E0C4106
	v_exp_f32_e32 v7, v7                                       // 0000000068F4: 7E0E4107
	v_add_f32_e64 v4, v4, 1.0                                  // 0000000068F8: D1010004 0001E504
	v_add_f32_e64 v5, v5, 1.0                                  // 000000006900: D1010005 0001E505
	v_add_f32_e64 v6, v6, 1.0                                  // 000000006908: D1010006 0001E506
	v_add_f32_e64 v7, v7, 1.0                                  // 000000006910: D1010007 0001E507
	v_rcp_f32_e32 v4, v4                                       // 000000006918: 7E084504
	v_rcp_f32_e32 v5, v5                                       // 00000000691C: 7E0A4505
	v_rcp_f32_e32 v6, v6                                       // 000000006920: 7E0C4506
	v_rcp_f32_e32 v7, v7                                       // 000000006924: 7E0E4507
	v_mul_f32_e32 v72, v72, v4                                 // 000000006928: 0A900948
	v_mul_f32_e32 v73, v73, v5                                 // 00000000692C: 0A920B49
	v_mul_f32_e32 v74, v74, v6                                 // 000000006930: 0A940D4A
	v_mul_f32_e32 v75, v75, v7                                 // 000000006934: 0A960F4B
	v_mul_f32_e32 v72, v72, v136                               // 000000006938: 0A911148
	v_mul_f32_e32 v73, v73, v137                               // 00000000693C: 0A931349
	v_mul_f32_e32 v74, v74, v138                               // 000000006940: 0A95154A
	v_mul_f32_e32 v75, v75, v139                               // 000000006944: 0A97174B
	v_mul_f32_e64 v4, -v76, s6                                 // 000000006948: D1050004 20000D4C
	v_mul_f32_e64 v5, -v77, s6                                 // 000000006950: D1050005 20000D4D
	v_mul_f32_e64 v6, -v78, s6                                 // 000000006958: D1050006 20000D4E
	v_mul_f32_e64 v7, -v79, s6                                 // 000000006960: D1050007 20000D4F
	v_exp_f32_e32 v4, v4                                       // 000000006968: 7E084104
	v_exp_f32_e32 v5, v5                                       // 00000000696C: 7E0A4105
	v_exp_f32_e32 v6, v6                                       // 000000006970: 7E0C4106
	v_exp_f32_e32 v7, v7                                       // 000000006974: 7E0E4107
	v_add_f32_e64 v4, v4, 1.0                                  // 000000006978: D1010004 0001E504
	v_add_f32_e64 v5, v5, 1.0                                  // 000000006980: D1010005 0001E505
	v_add_f32_e64 v6, v6, 1.0                                  // 000000006988: D1010006 0001E506
	v_add_f32_e64 v7, v7, 1.0                                  // 000000006990: D1010007 0001E507
	v_rcp_f32_e32 v4, v4                                       // 000000006998: 7E084504
	v_rcp_f32_e32 v5, v5                                       // 00000000699C: 7E0A4505
	v_rcp_f32_e32 v6, v6                                       // 0000000069A0: 7E0C4506
	v_rcp_f32_e32 v7, v7                                       // 0000000069A4: 7E0E4507
	v_mul_f32_e32 v76, v76, v4                                 // 0000000069A8: 0A98094C
	v_mul_f32_e32 v77, v77, v5                                 // 0000000069AC: 0A9A0B4D
	v_mul_f32_e32 v78, v78, v6                                 // 0000000069B0: 0A9C0D4E
	v_mul_f32_e32 v79, v79, v7                                 // 0000000069B4: 0A9E0F4F
	v_mul_f32_e32 v76, v76, v140                               // 0000000069B8: 0A99194C
	v_mul_f32_e32 v77, v77, v141                               // 0000000069BC: 0A9B1B4D
	v_mul_f32_e32 v78, v78, v142                               // 0000000069C0: 0A9D1D4E
	v_mul_f32_e32 v79, v79, v143                               // 0000000069C4: 0A9F1F4F
	v_mul_f32_e64 v4, -v80, s6                                 // 0000000069C8: D1050004 20000D50
	v_mul_f32_e64 v5, -v81, s6                                 // 0000000069D0: D1050005 20000D51
	v_mul_f32_e64 v6, -v82, s6                                 // 0000000069D8: D1050006 20000D52
	v_mul_f32_e64 v7, -v83, s6                                 // 0000000069E0: D1050007 20000D53
	v_exp_f32_e32 v4, v4                                       // 0000000069E8: 7E084104
	v_exp_f32_e32 v5, v5                                       // 0000000069EC: 7E0A4105
	v_exp_f32_e32 v6, v6                                       // 0000000069F0: 7E0C4106
	v_exp_f32_e32 v7, v7                                       // 0000000069F4: 7E0E4107
	v_add_f32_e64 v4, v4, 1.0                                  // 0000000069F8: D1010004 0001E504
	v_add_f32_e64 v5, v5, 1.0                                  // 000000006A00: D1010005 0001E505
	v_add_f32_e64 v6, v6, 1.0                                  // 000000006A08: D1010006 0001E506
	v_add_f32_e64 v7, v7, 1.0                                  // 000000006A10: D1010007 0001E507
	v_rcp_f32_e32 v4, v4                                       // 000000006A18: 7E084504
	v_rcp_f32_e32 v5, v5                                       // 000000006A1C: 7E0A4505
	v_rcp_f32_e32 v6, v6                                       // 000000006A20: 7E0C4506
	v_rcp_f32_e32 v7, v7                                       // 000000006A24: 7E0E4507
	v_mul_f32_e32 v80, v80, v4                                 // 000000006A28: 0AA00950
	v_mul_f32_e32 v81, v81, v5                                 // 000000006A2C: 0AA20B51
	v_mul_f32_e32 v82, v82, v6                                 // 000000006A30: 0AA40D52
	v_mul_f32_e32 v83, v83, v7                                 // 000000006A34: 0AA60F53
	v_mul_f32_e32 v80, v80, v144                               // 000000006A38: 0AA12150
	v_mul_f32_e32 v81, v81, v145                               // 000000006A3C: 0AA32351
	v_mul_f32_e32 v82, v82, v146                               // 000000006A40: 0AA52552
	v_mul_f32_e32 v83, v83, v147                               // 000000006A44: 0AA72753
	v_mul_f32_e64 v4, -v84, s6                                 // 000000006A48: D1050004 20000D54
	v_mul_f32_e64 v5, -v85, s6                                 // 000000006A50: D1050005 20000D55
	v_mul_f32_e64 v6, -v86, s6                                 // 000000006A58: D1050006 20000D56
	v_mul_f32_e64 v7, -v87, s6                                 // 000000006A60: D1050007 20000D57
	v_exp_f32_e32 v4, v4                                       // 000000006A68: 7E084104
	v_exp_f32_e32 v5, v5                                       // 000000006A6C: 7E0A4105
	v_exp_f32_e32 v6, v6                                       // 000000006A70: 7E0C4106
	v_exp_f32_e32 v7, v7                                       // 000000006A74: 7E0E4107
	v_add_f32_e64 v4, v4, 1.0                                  // 000000006A78: D1010004 0001E504
	v_add_f32_e64 v5, v5, 1.0                                  // 000000006A80: D1010005 0001E505
	v_add_f32_e64 v6, v6, 1.0                                  // 000000006A88: D1010006 0001E506
	v_add_f32_e64 v7, v7, 1.0                                  // 000000006A90: D1010007 0001E507
	v_rcp_f32_e32 v4, v4                                       // 000000006A98: 7E084504
	v_rcp_f32_e32 v5, v5                                       // 000000006A9C: 7E0A4505
	v_rcp_f32_e32 v6, v6                                       // 000000006AA0: 7E0C4506
	v_rcp_f32_e32 v7, v7                                       // 000000006AA4: 7E0E4507
	v_mul_f32_e32 v84, v84, v4                                 // 000000006AA8: 0AA80954
	v_mul_f32_e32 v85, v85, v5                                 // 000000006AAC: 0AAA0B55
	v_mul_f32_e32 v86, v86, v6                                 // 000000006AB0: 0AAC0D56
	v_mul_f32_e32 v87, v87, v7                                 // 000000006AB4: 0AAE0F57
	v_mul_f32_e32 v84, v84, v148                               // 000000006AB8: 0AA92954
	v_mul_f32_e32 v85, v85, v149                               // 000000006ABC: 0AAB2B55
	v_mul_f32_e32 v86, v86, v150                               // 000000006AC0: 0AAD2D56
	v_mul_f32_e32 v87, v87, v151                               // 000000006AC4: 0AAF2F57
	v_mul_f32_e64 v4, -v88, s6                                 // 000000006AC8: D1050004 20000D58
	v_mul_f32_e64 v5, -v89, s6                                 // 000000006AD0: D1050005 20000D59
	v_mul_f32_e64 v6, -v90, s6                                 // 000000006AD8: D1050006 20000D5A
	v_mul_f32_e64 v7, -v91, s6                                 // 000000006AE0: D1050007 20000D5B
	v_exp_f32_e32 v4, v4                                       // 000000006AE8: 7E084104
	v_exp_f32_e32 v5, v5                                       // 000000006AEC: 7E0A4105
	v_exp_f32_e32 v6, v6                                       // 000000006AF0: 7E0C4106
	v_exp_f32_e32 v7, v7                                       // 000000006AF4: 7E0E4107
	v_add_f32_e64 v4, v4, 1.0                                  // 000000006AF8: D1010004 0001E504
	v_add_f32_e64 v5, v5, 1.0                                  // 000000006B00: D1010005 0001E505
	v_add_f32_e64 v6, v6, 1.0                                  // 000000006B08: D1010006 0001E506
	v_add_f32_e64 v7, v7, 1.0                                  // 000000006B10: D1010007 0001E507
	v_rcp_f32_e32 v4, v4                                       // 000000006B18: 7E084504
	v_rcp_f32_e32 v5, v5                                       // 000000006B1C: 7E0A4505
	v_rcp_f32_e32 v6, v6                                       // 000000006B20: 7E0C4506
	v_rcp_f32_e32 v7, v7                                       // 000000006B24: 7E0E4507
	v_mul_f32_e32 v88, v88, v4                                 // 000000006B28: 0AB00958
	v_mul_f32_e32 v89, v89, v5                                 // 000000006B2C: 0AB20B59
	v_mul_f32_e32 v90, v90, v6                                 // 000000006B30: 0AB40D5A
	v_mul_f32_e32 v91, v91, v7                                 // 000000006B34: 0AB60F5B
	v_mul_f32_e32 v88, v88, v152                               // 000000006B38: 0AB13158
	v_mul_f32_e32 v89, v89, v153                               // 000000006B3C: 0AB33359
	v_mul_f32_e32 v90, v90, v154                               // 000000006B40: 0AB5355A
	v_mul_f32_e32 v91, v91, v155                               // 000000006B44: 0AB7375B
	v_mul_f32_e64 v4, -v92, s6                                 // 000000006B48: D1050004 20000D5C
	v_mul_f32_e64 v5, -v93, s6                                 // 000000006B50: D1050005 20000D5D
	v_mul_f32_e64 v6, -v94, s6                                 // 000000006B58: D1050006 20000D5E
	v_mul_f32_e64 v7, -v95, s6                                 // 000000006B60: D1050007 20000D5F
	v_exp_f32_e32 v4, v4                                       // 000000006B68: 7E084104
	v_exp_f32_e32 v5, v5                                       // 000000006B6C: 7E0A4105
	v_exp_f32_e32 v6, v6                                       // 000000006B70: 7E0C4106
	v_exp_f32_e32 v7, v7                                       // 000000006B74: 7E0E4107
	v_add_f32_e64 v4, v4, 1.0                                  // 000000006B78: D1010004 0001E504
	v_add_f32_e64 v5, v5, 1.0                                  // 000000006B80: D1010005 0001E505
	v_add_f32_e64 v6, v6, 1.0                                  // 000000006B88: D1010006 0001E506
	v_add_f32_e64 v7, v7, 1.0                                  // 000000006B90: D1010007 0001E507
	v_rcp_f32_e32 v4, v4                                       // 000000006B98: 7E084504
	v_rcp_f32_e32 v5, v5                                       // 000000006B9C: 7E0A4505
	v_rcp_f32_e32 v6, v6                                       // 000000006BA0: 7E0C4506
	v_rcp_f32_e32 v7, v7                                       // 000000006BA4: 7E0E4507
	v_mul_f32_e32 v92, v92, v4                                 // 000000006BA8: 0AB8095C
	v_mul_f32_e32 v93, v93, v5                                 // 000000006BAC: 0ABA0B5D
	v_mul_f32_e32 v94, v94, v6                                 // 000000006BB0: 0ABC0D5E
	v_mul_f32_e32 v95, v95, v7                                 // 000000006BB4: 0ABE0F5F
	v_mul_f32_e32 v92, v92, v156                               // 000000006BB8: 0AB9395C
	v_mul_f32_e32 v93, v93, v157                               // 000000006BBC: 0ABB3B5D
	v_mul_f32_e32 v94, v94, v158                               // 000000006BC0: 0ABD3D5E
	v_mul_f32_e32 v95, v95, v159                               // 000000006BC4: 0ABF3F5F
	v_mul_f32_e64 v4, -v96, s6                                 // 000000006BC8: D1050004 20000D60
	v_mul_f32_e64 v5, -v97, s6                                 // 000000006BD0: D1050005 20000D61
	v_mul_f32_e64 v6, -v98, s6                                 // 000000006BD8: D1050006 20000D62
	v_mul_f32_e64 v7, -v99, s6                                 // 000000006BE0: D1050007 20000D63
	v_exp_f32_e32 v4, v4                                       // 000000006BE8: 7E084104
	v_exp_f32_e32 v5, v5                                       // 000000006BEC: 7E0A4105
	v_exp_f32_e32 v6, v6                                       // 000000006BF0: 7E0C4106
	v_exp_f32_e32 v7, v7                                       // 000000006BF4: 7E0E4107
	v_add_f32_e64 v4, v4, 1.0                                  // 000000006BF8: D1010004 0001E504
	v_add_f32_e64 v5, v5, 1.0                                  // 000000006C00: D1010005 0001E505
	v_add_f32_e64 v6, v6, 1.0                                  // 000000006C08: D1010006 0001E506
	v_add_f32_e64 v7, v7, 1.0                                  // 000000006C10: D1010007 0001E507
	v_rcp_f32_e32 v4, v4                                       // 000000006C18: 7E084504
	v_rcp_f32_e32 v5, v5                                       // 000000006C1C: 7E0A4505
	v_rcp_f32_e32 v6, v6                                       // 000000006C20: 7E0C4506
	v_rcp_f32_e32 v7, v7                                       // 000000006C24: 7E0E4507
	v_mul_f32_e32 v96, v96, v4                                 // 000000006C28: 0AC00960
	v_mul_f32_e32 v97, v97, v5                                 // 000000006C2C: 0AC20B61
	v_mul_f32_e32 v98, v98, v6                                 // 000000006C30: 0AC40D62
	v_mul_f32_e32 v99, v99, v7                                 // 000000006C34: 0AC60F63
	v_mul_f32_e32 v96, v96, v160                               // 000000006C38: 0AC14160
	v_mul_f32_e32 v97, v97, v161                               // 000000006C3C: 0AC34361
	v_mul_f32_e32 v98, v98, v162                               // 000000006C40: 0AC54562
	v_mul_f32_e32 v99, v99, v163                               // 000000006C44: 0AC74763
	v_mul_f32_e64 v4, -v100, s6                                // 000000006C48: D1050004 20000D64
	v_mul_f32_e64 v5, -v101, s6                                // 000000006C50: D1050005 20000D65
	v_mul_f32_e64 v6, -v102, s6                                // 000000006C58: D1050006 20000D66
	v_mul_f32_e64 v7, -v103, s6                                // 000000006C60: D1050007 20000D67
	v_exp_f32_e32 v4, v4                                       // 000000006C68: 7E084104
	v_exp_f32_e32 v5, v5                                       // 000000006C6C: 7E0A4105
	v_exp_f32_e32 v6, v6                                       // 000000006C70: 7E0C4106
	v_exp_f32_e32 v7, v7                                       // 000000006C74: 7E0E4107
	v_add_f32_e64 v4, v4, 1.0                                  // 000000006C78: D1010004 0001E504
	v_add_f32_e64 v5, v5, 1.0                                  // 000000006C80: D1010005 0001E505
	v_add_f32_e64 v6, v6, 1.0                                  // 000000006C88: D1010006 0001E506
	v_add_f32_e64 v7, v7, 1.0                                  // 000000006C90: D1010007 0001E507
	v_rcp_f32_e32 v4, v4                                       // 000000006C98: 7E084504
	v_rcp_f32_e32 v5, v5                                       // 000000006C9C: 7E0A4505
	v_rcp_f32_e32 v6, v6                                       // 000000006CA0: 7E0C4506
	v_rcp_f32_e32 v7, v7                                       // 000000006CA4: 7E0E4507
	v_mul_f32_e32 v100, v100, v4                               // 000000006CA8: 0AC80964
	v_mul_f32_e32 v101, v101, v5                               // 000000006CAC: 0ACA0B65
	v_mul_f32_e32 v102, v102, v6                               // 000000006CB0: 0ACC0D66
	v_mul_f32_e32 v103, v103, v7                               // 000000006CB4: 0ACE0F67
	v_mul_f32_e32 v100, v100, v164                             // 000000006CB8: 0AC94964
	v_mul_f32_e32 v101, v101, v165                             // 000000006CBC: 0ACB4B65
	v_mul_f32_e32 v102, v102, v166                             // 000000006CC0: 0ACD4D66
	v_mul_f32_e32 v103, v103, v167                             // 000000006CC4: 0ACF4F67
	v_mul_f32_e64 v4, -v104, s6                                // 000000006CC8: D1050004 20000D68
	v_mul_f32_e64 v5, -v105, s6                                // 000000006CD0: D1050005 20000D69
	v_mul_f32_e64 v6, -v106, s6                                // 000000006CD8: D1050006 20000D6A
	v_mul_f32_e64 v7, -v107, s6                                // 000000006CE0: D1050007 20000D6B
	v_exp_f32_e32 v4, v4                                       // 000000006CE8: 7E084104
	v_exp_f32_e32 v5, v5                                       // 000000006CEC: 7E0A4105
	v_exp_f32_e32 v6, v6                                       // 000000006CF0: 7E0C4106
	v_exp_f32_e32 v7, v7                                       // 000000006CF4: 7E0E4107
	v_add_f32_e64 v4, v4, 1.0                                  // 000000006CF8: D1010004 0001E504
	v_add_f32_e64 v5, v5, 1.0                                  // 000000006D00: D1010005 0001E505
	v_add_f32_e64 v6, v6, 1.0                                  // 000000006D08: D1010006 0001E506
	v_add_f32_e64 v7, v7, 1.0                                  // 000000006D10: D1010007 0001E507
	v_rcp_f32_e32 v4, v4                                       // 000000006D18: 7E084504
	v_rcp_f32_e32 v5, v5                                       // 000000006D1C: 7E0A4505
	v_rcp_f32_e32 v6, v6                                       // 000000006D20: 7E0C4506
	v_rcp_f32_e32 v7, v7                                       // 000000006D24: 7E0E4507
	v_mul_f32_e32 v104, v104, v4                               // 000000006D28: 0AD00968
	v_mul_f32_e32 v105, v105, v5                               // 000000006D2C: 0AD20B69
	v_mul_f32_e32 v106, v106, v6                               // 000000006D30: 0AD40D6A
	v_mul_f32_e32 v107, v107, v7                               // 000000006D34: 0AD60F6B
	v_mul_f32_e32 v104, v104, v168                             // 000000006D38: 0AD15168
	v_mul_f32_e32 v105, v105, v169                             // 000000006D3C: 0AD35369
	v_mul_f32_e32 v106, v106, v170                             // 000000006D40: 0AD5556A
	v_mul_f32_e32 v107, v107, v171                             // 000000006D44: 0AD7576B
	v_mul_f32_e64 v4, -v108, s6                                // 000000006D48: D1050004 20000D6C
	v_mul_f32_e64 v5, -v109, s6                                // 000000006D50: D1050005 20000D6D
	v_mul_f32_e64 v6, -v110, s6                                // 000000006D58: D1050006 20000D6E
	v_mul_f32_e64 v7, -v111, s6                                // 000000006D60: D1050007 20000D6F
	v_exp_f32_e32 v4, v4                                       // 000000006D68: 7E084104
	v_exp_f32_e32 v5, v5                                       // 000000006D6C: 7E0A4105
	v_exp_f32_e32 v6, v6                                       // 000000006D70: 7E0C4106
	v_exp_f32_e32 v7, v7                                       // 000000006D74: 7E0E4107
	v_add_f32_e64 v4, v4, 1.0                                  // 000000006D78: D1010004 0001E504
	v_add_f32_e64 v5, v5, 1.0                                  // 000000006D80: D1010005 0001E505
	v_add_f32_e64 v6, v6, 1.0                                  // 000000006D88: D1010006 0001E506
	v_add_f32_e64 v7, v7, 1.0                                  // 000000006D90: D1010007 0001E507
	v_rcp_f32_e32 v4, v4                                       // 000000006D98: 7E084504
	v_rcp_f32_e32 v5, v5                                       // 000000006D9C: 7E0A4505
	v_rcp_f32_e32 v6, v6                                       // 000000006DA0: 7E0C4506
	v_rcp_f32_e32 v7, v7                                       // 000000006DA4: 7E0E4507
	v_mul_f32_e32 v108, v108, v4                               // 000000006DA8: 0AD8096C
	v_mul_f32_e32 v109, v109, v5                               // 000000006DAC: 0ADA0B6D
	v_mul_f32_e32 v110, v110, v6                               // 000000006DB0: 0ADC0D6E
	v_mul_f32_e32 v111, v111, v7                               // 000000006DB4: 0ADE0F6F
	v_mul_f32_e32 v108, v108, v172                             // 000000006DB8: 0AD9596C
	v_mul_f32_e32 v109, v109, v173                             // 000000006DBC: 0ADB5B6D
	v_mul_f32_e32 v110, v110, v174                             // 000000006DC0: 0ADD5D6E
	v_mul_f32_e32 v111, v111, v175                             // 000000006DC4: 0ADF5F6F
	v_mul_f32_e64 v4, -v112, s6                                // 000000006DC8: D1050004 20000D70
	v_mul_f32_e64 v5, -v113, s6                                // 000000006DD0: D1050005 20000D71
	v_mul_f32_e64 v6, -v114, s6                                // 000000006DD8: D1050006 20000D72
	v_mul_f32_e64 v7, -v115, s6                                // 000000006DE0: D1050007 20000D73
	v_exp_f32_e32 v4, v4                                       // 000000006DE8: 7E084104
	v_exp_f32_e32 v5, v5                                       // 000000006DEC: 7E0A4105
	v_exp_f32_e32 v6, v6                                       // 000000006DF0: 7E0C4106
	v_exp_f32_e32 v7, v7                                       // 000000006DF4: 7E0E4107
	v_add_f32_e64 v4, v4, 1.0                                  // 000000006DF8: D1010004 0001E504
	v_add_f32_e64 v5, v5, 1.0                                  // 000000006E00: D1010005 0001E505
	v_add_f32_e64 v6, v6, 1.0                                  // 000000006E08: D1010006 0001E506
	v_add_f32_e64 v7, v7, 1.0                                  // 000000006E10: D1010007 0001E507
	v_rcp_f32_e32 v4, v4                                       // 000000006E18: 7E084504
	v_rcp_f32_e32 v5, v5                                       // 000000006E1C: 7E0A4505
	v_rcp_f32_e32 v6, v6                                       // 000000006E20: 7E0C4506
	v_rcp_f32_e32 v7, v7                                       // 000000006E24: 7E0E4507
	v_mul_f32_e32 v112, v112, v4                               // 000000006E28: 0AE00970
	v_mul_f32_e32 v113, v113, v5                               // 000000006E2C: 0AE20B71
	v_mul_f32_e32 v114, v114, v6                               // 000000006E30: 0AE40D72
	v_mul_f32_e32 v115, v115, v7                               // 000000006E34: 0AE60F73
	v_mul_f32_e32 v112, v112, v176                             // 000000006E38: 0AE16170
	v_mul_f32_e32 v113, v113, v177                             // 000000006E3C: 0AE36371
	v_mul_f32_e32 v114, v114, v178                             // 000000006E40: 0AE56572
	v_mul_f32_e32 v115, v115, v179                             // 000000006E44: 0AE76773
	v_mul_f32_e64 v4, -v116, s6                                // 000000006E48: D1050004 20000D74
	v_mul_f32_e64 v5, -v117, s6                                // 000000006E50: D1050005 20000D75
	v_mul_f32_e64 v6, -v118, s6                                // 000000006E58: D1050006 20000D76
	v_mul_f32_e64 v7, -v119, s6                                // 000000006E60: D1050007 20000D77
	v_exp_f32_e32 v4, v4                                       // 000000006E68: 7E084104
	v_exp_f32_e32 v5, v5                                       // 000000006E6C: 7E0A4105
	v_exp_f32_e32 v6, v6                                       // 000000006E70: 7E0C4106
	v_exp_f32_e32 v7, v7                                       // 000000006E74: 7E0E4107
	v_add_f32_e64 v4, v4, 1.0                                  // 000000006E78: D1010004 0001E504
	v_add_f32_e64 v5, v5, 1.0                                  // 000000006E80: D1010005 0001E505
	v_add_f32_e64 v6, v6, 1.0                                  // 000000006E88: D1010006 0001E506
	v_add_f32_e64 v7, v7, 1.0                                  // 000000006E90: D1010007 0001E507
	v_rcp_f32_e32 v4, v4                                       // 000000006E98: 7E084504
	v_rcp_f32_e32 v5, v5                                       // 000000006E9C: 7E0A4505
	v_rcp_f32_e32 v6, v6                                       // 000000006EA0: 7E0C4506
	v_rcp_f32_e32 v7, v7                                       // 000000006EA4: 7E0E4507
	v_mul_f32_e32 v116, v116, v4                               // 000000006EA8: 0AE80974
	v_mul_f32_e32 v117, v117, v5                               // 000000006EAC: 0AEA0B75
	v_mul_f32_e32 v118, v118, v6                               // 000000006EB0: 0AEC0D76
	v_mul_f32_e32 v119, v119, v7                               // 000000006EB4: 0AEE0F77
	v_mul_f32_e32 v116, v116, v180                             // 000000006EB8: 0AE96974
	v_mul_f32_e32 v117, v117, v181                             // 000000006EBC: 0AEB6B75
	v_mul_f32_e32 v118, v118, v182                             // 000000006EC0: 0AED6D76
	v_mul_f32_e32 v119, v119, v183                             // 000000006EC4: 0AEF6F77
	v_mul_f32_e64 v4, -v120, s6                                // 000000006EC8: D1050004 20000D78
	v_mul_f32_e64 v5, -v121, s6                                // 000000006ED0: D1050005 20000D79
	v_mul_f32_e64 v6, -v122, s6                                // 000000006ED8: D1050006 20000D7A
	v_mul_f32_e64 v7, -v123, s6                                // 000000006EE0: D1050007 20000D7B
	v_exp_f32_e32 v4, v4                                       // 000000006EE8: 7E084104
	v_exp_f32_e32 v5, v5                                       // 000000006EEC: 7E0A4105
	v_exp_f32_e32 v6, v6                                       // 000000006EF0: 7E0C4106
	v_exp_f32_e32 v7, v7                                       // 000000006EF4: 7E0E4107
	v_add_f32_e64 v4, v4, 1.0                                  // 000000006EF8: D1010004 0001E504
	v_add_f32_e64 v5, v5, 1.0                                  // 000000006F00: D1010005 0001E505
	v_add_f32_e64 v6, v6, 1.0                                  // 000000006F08: D1010006 0001E506
	v_add_f32_e64 v7, v7, 1.0                                  // 000000006F10: D1010007 0001E507
	v_rcp_f32_e32 v4, v4                                       // 000000006F18: 7E084504
	v_rcp_f32_e32 v5, v5                                       // 000000006F1C: 7E0A4505
	v_rcp_f32_e32 v6, v6                                       // 000000006F20: 7E0C4506
	v_rcp_f32_e32 v7, v7                                       // 000000006F24: 7E0E4507
	v_mul_f32_e32 v120, v120, v4                               // 000000006F28: 0AF00978
	v_mul_f32_e32 v121, v121, v5                               // 000000006F2C: 0AF20B79
	v_mul_f32_e32 v122, v122, v6                               // 000000006F30: 0AF40D7A
	v_mul_f32_e32 v123, v123, v7                               // 000000006F34: 0AF60F7B
	v_mul_f32_e32 v120, v120, v184                             // 000000006F38: 0AF17178
	v_mul_f32_e32 v121, v121, v185                             // 000000006F3C: 0AF37379
	v_mul_f32_e32 v122, v122, v186                             // 000000006F40: 0AF5757A
	v_mul_f32_e32 v123, v123, v187                             // 000000006F44: 0AF7777B

0000000000006f48 <label_1152>:
	v_cmp_u_f32_e64 s[46:47], v60, v60                         // 000000006F48: D048002E 0002793C
	v_add3_u32 v16, v60, v19, 1                                // 000000006F50: D1FF0010 0206273C
	v_cndmask_b32_e64 v4, v16, v18, s[46:47]                   // 000000006F58: D1000004 00BA2510
	v_cmp_u_f32_e64 s[46:47], v61, v61                         // 000000006F60: D048002E 00027B3D
	v_add3_u32 v16, v61, v19, 1                                // 000000006F68: D1FF0010 0206273D
	v_cndmask_b32_e64 v5, v16, v18, s[46:47]                   // 000000006F70: D1000005 00BA2510
	v_perm_b32 v60, v5, v4, s52                                // 000000006F78: D1ED003C 00D20905
	v_cmp_u_f32_e64 s[46:47], v62, v62                         // 000000006F80: D048002E 00027D3E
	v_add3_u32 v16, v62, v19, 1                                // 000000006F88: D1FF0010 0206273E
	v_cndmask_b32_e64 v4, v16, v18, s[46:47]                   // 000000006F90: D1000004 00BA2510
	v_cmp_u_f32_e64 s[46:47], v63, v63                         // 000000006F98: D048002E 00027F3F
	v_add3_u32 v16, v63, v19, 1                                // 000000006FA0: D1FF0010 0206273F
	v_cndmask_b32_e64 v5, v16, v18, s[46:47]                   // 000000006FA8: D1000005 00BA2510
	v_perm_b32 v61, v5, v4, s52                                // 000000006FB0: D1ED003D 00D20905
	v_cmp_u_f32_e64 s[46:47], v64, v64                         // 000000006FB8: D048002E 00028140
	v_add3_u32 v16, v64, v19, 1                                // 000000006FC0: D1FF0010 02062740
	v_cndmask_b32_e64 v4, v16, v18, s[46:47]                   // 000000006FC8: D1000004 00BA2510
	v_cmp_u_f32_e64 s[46:47], v65, v65                         // 000000006FD0: D048002E 00028341
	v_add3_u32 v16, v65, v19, 1                                // 000000006FD8: D1FF0010 02062741
	v_cndmask_b32_e64 v5, v16, v18, s[46:47]                   // 000000006FE0: D1000005 00BA2510
	v_perm_b32 v62, v5, v4, s52                                // 000000006FE8: D1ED003E 00D20905
	v_cmp_u_f32_e64 s[46:47], v66, v66                         // 000000006FF0: D048002E 00028542
	v_add3_u32 v16, v66, v19, 1                                // 000000006FF8: D1FF0010 02062742
	v_cndmask_b32_e64 v4, v16, v18, s[46:47]                   // 000000007000: D1000004 00BA2510
	v_cmp_u_f32_e64 s[46:47], v67, v67                         // 000000007008: D048002E 00028743
	v_add3_u32 v16, v67, v19, 1                                // 000000007010: D1FF0010 02062743
	v_cndmask_b32_e64 v5, v16, v18, s[46:47]                   // 000000007018: D1000005 00BA2510
	v_perm_b32 v63, v5, v4, s52                                // 000000007020: D1ED003F 00D20905
	v_cmp_u_f32_e64 s[46:47], v68, v68                         // 000000007028: D048002E 00028944
	v_add3_u32 v16, v68, v19, 1                                // 000000007030: D1FF0010 02062744
	v_cndmask_b32_e64 v4, v16, v18, s[46:47]                   // 000000007038: D1000004 00BA2510
	v_cmp_u_f32_e64 s[46:47], v69, v69                         // 000000007040: D048002E 00028B45
	v_add3_u32 v16, v69, v19, 1                                // 000000007048: D1FF0010 02062745
	v_cndmask_b32_e64 v5, v16, v18, s[46:47]                   // 000000007050: D1000005 00BA2510
	v_perm_b32 v64, v5, v4, s52                                // 000000007058: D1ED0040 00D20905
	v_cmp_u_f32_e64 s[46:47], v70, v70                         // 000000007060: D048002E 00028D46
	v_add3_u32 v16, v70, v19, 1                                // 000000007068: D1FF0010 02062746
	v_cndmask_b32_e64 v4, v16, v18, s[46:47]                   // 000000007070: D1000004 00BA2510
	v_cmp_u_f32_e64 s[46:47], v71, v71                         // 000000007078: D048002E 00028F47
	v_add3_u32 v16, v71, v19, 1                                // 000000007080: D1FF0010 02062747
	v_cndmask_b32_e64 v5, v16, v18, s[46:47]                   // 000000007088: D1000005 00BA2510
	v_perm_b32 v65, v5, v4, s52                                // 000000007090: D1ED0041 00D20905
	v_cmp_u_f32_e64 s[46:47], v72, v72                         // 000000007098: D048002E 00029148
	v_add3_u32 v16, v72, v19, 1                                // 0000000070A0: D1FF0010 02062748
	v_cndmask_b32_e64 v4, v16, v18, s[46:47]                   // 0000000070A8: D1000004 00BA2510
	v_cmp_u_f32_e64 s[46:47], v73, v73                         // 0000000070B0: D048002E 00029349
	v_add3_u32 v16, v73, v19, 1                                // 0000000070B8: D1FF0010 02062749
	v_cndmask_b32_e64 v5, v16, v18, s[46:47]                   // 0000000070C0: D1000005 00BA2510
	v_perm_b32 v66, v5, v4, s52                                // 0000000070C8: D1ED0042 00D20905
	v_cmp_u_f32_e64 s[46:47], v74, v74                         // 0000000070D0: D048002E 0002954A
	v_add3_u32 v16, v74, v19, 1                                // 0000000070D8: D1FF0010 0206274A
	v_cndmask_b32_e64 v4, v16, v18, s[46:47]                   // 0000000070E0: D1000004 00BA2510
	v_cmp_u_f32_e64 s[46:47], v75, v75                         // 0000000070E8: D048002E 0002974B
	v_add3_u32 v16, v75, v19, 1                                // 0000000070F0: D1FF0010 0206274B
	v_cndmask_b32_e64 v5, v16, v18, s[46:47]                   // 0000000070F8: D1000005 00BA2510
	v_perm_b32 v67, v5, v4, s52                                // 000000007100: D1ED0043 00D20905
	v_cmp_u_f32_e64 s[46:47], v76, v76                         // 000000007108: D048002E 0002994C
	v_add3_u32 v16, v76, v19, 1                                // 000000007110: D1FF0010 0206274C
	v_cndmask_b32_e64 v4, v16, v18, s[46:47]                   // 000000007118: D1000004 00BA2510
	v_cmp_u_f32_e64 s[46:47], v77, v77                         // 000000007120: D048002E 00029B4D
	v_add3_u32 v16, v77, v19, 1                                // 000000007128: D1FF0010 0206274D
	v_cndmask_b32_e64 v5, v16, v18, s[46:47]                   // 000000007130: D1000005 00BA2510
	v_perm_b32 v68, v5, v4, s52                                // 000000007138: D1ED0044 00D20905
	v_cmp_u_f32_e64 s[46:47], v78, v78                         // 000000007140: D048002E 00029D4E
	v_add3_u32 v16, v78, v19, 1                                // 000000007148: D1FF0010 0206274E
	v_cndmask_b32_e64 v4, v16, v18, s[46:47]                   // 000000007150: D1000004 00BA2510
	v_cmp_u_f32_e64 s[46:47], v79, v79                         // 000000007158: D048002E 00029F4F
	v_add3_u32 v16, v79, v19, 1                                // 000000007160: D1FF0010 0206274F
	v_cndmask_b32_e64 v5, v16, v18, s[46:47]                   // 000000007168: D1000005 00BA2510
	v_perm_b32 v69, v5, v4, s52                                // 000000007170: D1ED0045 00D20905
	v_cmp_u_f32_e64 s[46:47], v80, v80                         // 000000007178: D048002E 0002A150
	v_add3_u32 v16, v80, v19, 1                                // 000000007180: D1FF0010 02062750
	v_cndmask_b32_e64 v4, v16, v18, s[46:47]                   // 000000007188: D1000004 00BA2510
	v_cmp_u_f32_e64 s[46:47], v81, v81                         // 000000007190: D048002E 0002A351
	v_add3_u32 v16, v81, v19, 1                                // 000000007198: D1FF0010 02062751
	v_cndmask_b32_e64 v5, v16, v18, s[46:47]                   // 0000000071A0: D1000005 00BA2510
	v_perm_b32 v70, v5, v4, s52                                // 0000000071A8: D1ED0046 00D20905
	v_cmp_u_f32_e64 s[46:47], v82, v82                         // 0000000071B0: D048002E 0002A552
	v_add3_u32 v16, v82, v19, 1                                // 0000000071B8: D1FF0010 02062752
	v_cndmask_b32_e64 v4, v16, v18, s[46:47]                   // 0000000071C0: D1000004 00BA2510
	v_cmp_u_f32_e64 s[46:47], v83, v83                         // 0000000071C8: D048002E 0002A753
	v_add3_u32 v16, v83, v19, 1                                // 0000000071D0: D1FF0010 02062753
	v_cndmask_b32_e64 v5, v16, v18, s[46:47]                   // 0000000071D8: D1000005 00BA2510
	v_perm_b32 v71, v5, v4, s52                                // 0000000071E0: D1ED0047 00D20905
	v_cmp_u_f32_e64 s[46:47], v84, v84                         // 0000000071E8: D048002E 0002A954
	v_add3_u32 v16, v84, v19, 1                                // 0000000071F0: D1FF0010 02062754
	v_cndmask_b32_e64 v4, v16, v18, s[46:47]                   // 0000000071F8: D1000004 00BA2510
	v_cmp_u_f32_e64 s[46:47], v85, v85                         // 000000007200: D048002E 0002AB55
	v_add3_u32 v16, v85, v19, 1                                // 000000007208: D1FF0010 02062755
	v_cndmask_b32_e64 v5, v16, v18, s[46:47]                   // 000000007210: D1000005 00BA2510
	v_perm_b32 v72, v5, v4, s52                                // 000000007218: D1ED0048 00D20905
	v_cmp_u_f32_e64 s[46:47], v86, v86                         // 000000007220: D048002E 0002AD56
	v_add3_u32 v16, v86, v19, 1                                // 000000007228: D1FF0010 02062756
	v_cndmask_b32_e64 v4, v16, v18, s[46:47]                   // 000000007230: D1000004 00BA2510
	v_cmp_u_f32_e64 s[46:47], v87, v87                         // 000000007238: D048002E 0002AF57
	v_add3_u32 v16, v87, v19, 1                                // 000000007240: D1FF0010 02062757
	v_cndmask_b32_e64 v5, v16, v18, s[46:47]                   // 000000007248: D1000005 00BA2510
	v_perm_b32 v73, v5, v4, s52                                // 000000007250: D1ED0049 00D20905
	v_cmp_u_f32_e64 s[46:47], v88, v88                         // 000000007258: D048002E 0002B158
	v_add3_u32 v16, v88, v19, 1                                // 000000007260: D1FF0010 02062758
	v_cndmask_b32_e64 v4, v16, v18, s[46:47]                   // 000000007268: D1000004 00BA2510
	v_cmp_u_f32_e64 s[46:47], v89, v89                         // 000000007270: D048002E 0002B359
	v_add3_u32 v16, v89, v19, 1                                // 000000007278: D1FF0010 02062759
	v_cndmask_b32_e64 v5, v16, v18, s[46:47]                   // 000000007280: D1000005 00BA2510
	v_perm_b32 v74, v5, v4, s52                                // 000000007288: D1ED004A 00D20905
	v_cmp_u_f32_e64 s[46:47], v90, v90                         // 000000007290: D048002E 0002B55A
	v_add3_u32 v16, v90, v19, 1                                // 000000007298: D1FF0010 0206275A
	v_cndmask_b32_e64 v4, v16, v18, s[46:47]                   // 0000000072A0: D1000004 00BA2510
	v_cmp_u_f32_e64 s[46:47], v91, v91                         // 0000000072A8: D048002E 0002B75B
	v_add3_u32 v16, v91, v19, 1                                // 0000000072B0: D1FF0010 0206275B
	v_cndmask_b32_e64 v5, v16, v18, s[46:47]                   // 0000000072B8: D1000005 00BA2510
	v_perm_b32 v75, v5, v4, s52                                // 0000000072C0: D1ED004B 00D20905
	v_cmp_u_f32_e64 s[46:47], v92, v92                         // 0000000072C8: D048002E 0002B95C
	v_add3_u32 v16, v92, v19, 1                                // 0000000072D0: D1FF0010 0206275C
	v_cndmask_b32_e64 v4, v16, v18, s[46:47]                   // 0000000072D8: D1000004 00BA2510
	v_cmp_u_f32_e64 s[46:47], v93, v93                         // 0000000072E0: D048002E 0002BB5D
	v_add3_u32 v16, v93, v19, 1                                // 0000000072E8: D1FF0010 0206275D
	v_cndmask_b32_e64 v5, v16, v18, s[46:47]                   // 0000000072F0: D1000005 00BA2510
	v_perm_b32 v76, v5, v4, s52                                // 0000000072F8: D1ED004C 00D20905
	v_cmp_u_f32_e64 s[46:47], v94, v94                         // 000000007300: D048002E 0002BD5E
	v_add3_u32 v16, v94, v19, 1                                // 000000007308: D1FF0010 0206275E
	v_cndmask_b32_e64 v4, v16, v18, s[46:47]                   // 000000007310: D1000004 00BA2510
	v_cmp_u_f32_e64 s[46:47], v95, v95                         // 000000007318: D048002E 0002BF5F
	v_add3_u32 v16, v95, v19, 1                                // 000000007320: D1FF0010 0206275F
	v_cndmask_b32_e64 v5, v16, v18, s[46:47]                   // 000000007328: D1000005 00BA2510
	v_perm_b32 v77, v5, v4, s52                                // 000000007330: D1ED004D 00D20905
	v_cmp_u_f32_e64 s[46:47], v96, v96                         // 000000007338: D048002E 0002C160
	v_add3_u32 v16, v96, v19, 1                                // 000000007340: D1FF0010 02062760
	v_cndmask_b32_e64 v4, v16, v18, s[46:47]                   // 000000007348: D1000004 00BA2510
	v_cmp_u_f32_e64 s[46:47], v97, v97                         // 000000007350: D048002E 0002C361
	v_add3_u32 v16, v97, v19, 1                                // 000000007358: D1FF0010 02062761
	v_cndmask_b32_e64 v5, v16, v18, s[46:47]                   // 000000007360: D1000005 00BA2510
	v_perm_b32 v78, v5, v4, s52                                // 000000007368: D1ED004E 00D20905
	v_cmp_u_f32_e64 s[46:47], v98, v98                         // 000000007370: D048002E 0002C562
	v_add3_u32 v16, v98, v19, 1                                // 000000007378: D1FF0010 02062762
	v_cndmask_b32_e64 v4, v16, v18, s[46:47]                   // 000000007380: D1000004 00BA2510
	v_cmp_u_f32_e64 s[46:47], v99, v99                         // 000000007388: D048002E 0002C763
	v_add3_u32 v16, v99, v19, 1                                // 000000007390: D1FF0010 02062763
	v_cndmask_b32_e64 v5, v16, v18, s[46:47]                   // 000000007398: D1000005 00BA2510
	v_perm_b32 v79, v5, v4, s52                                // 0000000073A0: D1ED004F 00D20905
	v_cmp_u_f32_e64 s[46:47], v100, v100                       // 0000000073A8: D048002E 0002C964
	v_add3_u32 v16, v100, v19, 1                               // 0000000073B0: D1FF0010 02062764
	v_cndmask_b32_e64 v4, v16, v18, s[46:47]                   // 0000000073B8: D1000004 00BA2510
	v_cmp_u_f32_e64 s[46:47], v101, v101                       // 0000000073C0: D048002E 0002CB65
	v_add3_u32 v16, v101, v19, 1                               // 0000000073C8: D1FF0010 02062765
	v_cndmask_b32_e64 v5, v16, v18, s[46:47]                   // 0000000073D0: D1000005 00BA2510
	v_perm_b32 v80, v5, v4, s52                                // 0000000073D8: D1ED0050 00D20905
	v_cmp_u_f32_e64 s[46:47], v102, v102                       // 0000000073E0: D048002E 0002CD66
	v_add3_u32 v16, v102, v19, 1                               // 0000000073E8: D1FF0010 02062766
	v_cndmask_b32_e64 v4, v16, v18, s[46:47]                   // 0000000073F0: D1000004 00BA2510
	v_cmp_u_f32_e64 s[46:47], v103, v103                       // 0000000073F8: D048002E 0002CF67
	v_add3_u32 v16, v103, v19, 1                               // 000000007400: D1FF0010 02062767
	v_cndmask_b32_e64 v5, v16, v18, s[46:47]                   // 000000007408: D1000005 00BA2510
	v_perm_b32 v81, v5, v4, s52                                // 000000007410: D1ED0051 00D20905
	v_cmp_u_f32_e64 s[46:47], v104, v104                       // 000000007418: D048002E 0002D168
	v_add3_u32 v16, v104, v19, 1                               // 000000007420: D1FF0010 02062768
	v_cndmask_b32_e64 v4, v16, v18, s[46:47]                   // 000000007428: D1000004 00BA2510
	v_cmp_u_f32_e64 s[46:47], v105, v105                       // 000000007430: D048002E 0002D369
	v_add3_u32 v16, v105, v19, 1                               // 000000007438: D1FF0010 02062769
	v_cndmask_b32_e64 v5, v16, v18, s[46:47]                   // 000000007440: D1000005 00BA2510
	v_perm_b32 v82, v5, v4, s52                                // 000000007448: D1ED0052 00D20905
	v_cmp_u_f32_e64 s[46:47], v106, v106                       // 000000007450: D048002E 0002D56A
	v_add3_u32 v16, v106, v19, 1                               // 000000007458: D1FF0010 0206276A
	v_cndmask_b32_e64 v4, v16, v18, s[46:47]                   // 000000007460: D1000004 00BA2510
	v_cmp_u_f32_e64 s[46:47], v107, v107                       // 000000007468: D048002E 0002D76B
	v_add3_u32 v16, v107, v19, 1                               // 000000007470: D1FF0010 0206276B
	v_cndmask_b32_e64 v5, v16, v18, s[46:47]                   // 000000007478: D1000005 00BA2510
	v_perm_b32 v83, v5, v4, s52                                // 000000007480: D1ED0053 00D20905
	v_cmp_u_f32_e64 s[46:47], v108, v108                       // 000000007488: D048002E 0002D96C
	v_add3_u32 v16, v108, v19, 1                               // 000000007490: D1FF0010 0206276C
	v_cndmask_b32_e64 v4, v16, v18, s[46:47]                   // 000000007498: D1000004 00BA2510
	v_cmp_u_f32_e64 s[46:47], v109, v109                       // 0000000074A0: D048002E 0002DB6D
	v_add3_u32 v16, v109, v19, 1                               // 0000000074A8: D1FF0010 0206276D
	v_cndmask_b32_e64 v5, v16, v18, s[46:47]                   // 0000000074B0: D1000005 00BA2510
	v_perm_b32 v84, v5, v4, s52                                // 0000000074B8: D1ED0054 00D20905
	v_cmp_u_f32_e64 s[46:47], v110, v110                       // 0000000074C0: D048002E 0002DD6E
	v_add3_u32 v16, v110, v19, 1                               // 0000000074C8: D1FF0010 0206276E
	v_cndmask_b32_e64 v4, v16, v18, s[46:47]                   // 0000000074D0: D1000004 00BA2510
	v_cmp_u_f32_e64 s[46:47], v111, v111                       // 0000000074D8: D048002E 0002DF6F
	v_add3_u32 v16, v111, v19, 1                               // 0000000074E0: D1FF0010 0206276F
	v_cndmask_b32_e64 v5, v16, v18, s[46:47]                   // 0000000074E8: D1000005 00BA2510
	v_perm_b32 v85, v5, v4, s52                                // 0000000074F0: D1ED0055 00D20905
	v_cmp_u_f32_e64 s[46:47], v112, v112                       // 0000000074F8: D048002E 0002E170
	v_add3_u32 v16, v112, v19, 1                               // 000000007500: D1FF0010 02062770
	v_cndmask_b32_e64 v4, v16, v18, s[46:47]                   // 000000007508: D1000004 00BA2510
	v_cmp_u_f32_e64 s[46:47], v113, v113                       // 000000007510: D048002E 0002E371
	v_add3_u32 v16, v113, v19, 1                               // 000000007518: D1FF0010 02062771
	v_cndmask_b32_e64 v5, v16, v18, s[46:47]                   // 000000007520: D1000005 00BA2510
	v_perm_b32 v86, v5, v4, s52                                // 000000007528: D1ED0056 00D20905
	v_cmp_u_f32_e64 s[46:47], v114, v114                       // 000000007530: D048002E 0002E572
	v_add3_u32 v16, v114, v19, 1                               // 000000007538: D1FF0010 02062772
	v_cndmask_b32_e64 v4, v16, v18, s[46:47]                   // 000000007540: D1000004 00BA2510
	v_cmp_u_f32_e64 s[46:47], v115, v115                       // 000000007548: D048002E 0002E773
	v_add3_u32 v16, v115, v19, 1                               // 000000007550: D1FF0010 02062773
	v_cndmask_b32_e64 v5, v16, v18, s[46:47]                   // 000000007558: D1000005 00BA2510
	v_perm_b32 v87, v5, v4, s52                                // 000000007560: D1ED0057 00D20905
	v_cmp_u_f32_e64 s[46:47], v116, v116                       // 000000007568: D048002E 0002E974
	v_add3_u32 v16, v116, v19, 1                               // 000000007570: D1FF0010 02062774
	v_cndmask_b32_e64 v4, v16, v18, s[46:47]                   // 000000007578: D1000004 00BA2510
	v_cmp_u_f32_e64 s[46:47], v117, v117                       // 000000007580: D048002E 0002EB75
	v_add3_u32 v16, v117, v19, 1                               // 000000007588: D1FF0010 02062775
	v_cndmask_b32_e64 v5, v16, v18, s[46:47]                   // 000000007590: D1000005 00BA2510
	v_perm_b32 v88, v5, v4, s52                                // 000000007598: D1ED0058 00D20905
	v_cmp_u_f32_e64 s[46:47], v118, v118                       // 0000000075A0: D048002E 0002ED76
	v_add3_u32 v16, v118, v19, 1                               // 0000000075A8: D1FF0010 02062776
	v_cndmask_b32_e64 v4, v16, v18, s[46:47]                   // 0000000075B0: D1000004 00BA2510
	v_cmp_u_f32_e64 s[46:47], v119, v119                       // 0000000075B8: D048002E 0002EF77
	v_add3_u32 v16, v119, v19, 1                               // 0000000075C0: D1FF0010 02062777
	v_cndmask_b32_e64 v5, v16, v18, s[46:47]                   // 0000000075C8: D1000005 00BA2510
	v_perm_b32 v89, v5, v4, s52                                // 0000000075D0: D1ED0059 00D20905
	v_cmp_u_f32_e64 s[46:47], v120, v120                       // 0000000075D8: D048002E 0002F178
	v_add3_u32 v16, v120, v19, 1                               // 0000000075E0: D1FF0010 02062778
	v_cndmask_b32_e64 v4, v16, v18, s[46:47]                   // 0000000075E8: D1000004 00BA2510
	v_cmp_u_f32_e64 s[46:47], v121, v121                       // 0000000075F0: D048002E 0002F379
	v_add3_u32 v16, v121, v19, 1                               // 0000000075F8: D1FF0010 02062779
	v_cndmask_b32_e64 v5, v16, v18, s[46:47]                   // 000000007600: D1000005 00BA2510
	v_perm_b32 v90, v5, v4, s52                                // 000000007608: D1ED005A 00D20905
	v_cmp_u_f32_e64 s[46:47], v122, v122                       // 000000007610: D048002E 0002F57A
	v_add3_u32 v16, v122, v19, 1                               // 000000007618: D1FF0010 0206277A
	v_cndmask_b32_e64 v4, v16, v18, s[46:47]                   // 000000007620: D1000004 00BA2510
	v_cmp_u_f32_e64 s[46:47], v123, v123                       // 000000007628: D048002E 0002F77B
	v_add3_u32 v16, v123, v19, 1                               // 000000007630: D1FF0010 0206277B
	v_cndmask_b32_e64 v5, v16, v18, s[46:47]                   // 000000007638: D1000005 00BA2510
	v_perm_b32 v91, v5, v4, s52                                // 000000007640: D1ED005B 00D20905
	ds_write_b64 v20, v[60:61]                                 // 000000007648: D89A0000 00003C14
	ds_write_b64 v20, v[62:63] offset:8704                     // 000000007650: D89A2200 00003E14
	ds_write_b64 v20, v[64:65] offset:17408                    // 000000007658: D89A4400 00004014
	ds_write_b64 v20, v[66:67] offset:26112                    // 000000007660: D89A6600 00004214
	ds_write_b64 v20, v[68:69] offset:2176                     // 000000007668: D89A0880 00004414
	ds_write_b64 v20, v[70:71] offset:10880                    // 000000007670: D89A2A80 00004614
	ds_write_b64 v20, v[72:73] offset:19584                    // 000000007678: D89A4C80 00004814
	ds_write_b64 v20, v[74:75] offset:28288                    // 000000007680: D89A6E80 00004A14
	ds_write_b64 v20, v[76:77] offset:4352                     // 000000007688: D89A1100 00004C14
	ds_write_b64 v20, v[78:79] offset:13056                    // 000000007690: D89A3300 00004E14
	ds_write_b64 v20, v[80:81] offset:21760                    // 000000007698: D89A5500 00005014
	ds_write_b64 v20, v[82:83] offset:30464                    // 0000000076A0: D89A7700 00005214
	ds_write_b64 v20, v[84:85] offset:6528                     // 0000000076A8: D89A1980 00005414
	ds_write_b64 v20, v[86:87] offset:15232                    // 0000000076B0: D89A3B80 00005614
	ds_write_b64 v20, v[88:89] offset:23936                    // 0000000076B8: D89A5D80 00005814
	ds_write_b64 v20, v[90:91] offset:32640                    // 0000000076C0: D89A7F80 00005A14
	v_lshrrev_b32_e32 v4, 5, v0                                // 0000000076C8: 20080085
	v_xor_b32_e32 v5, 1, v4                                    // 0000000076CC: 2A0A0881
	s_mul_i32 s60, s65, 2                                      // 0000000076D0: 923C8241
	s_cmp_eq_u32 s88, 0                                        // 0000000076D4: BF068058
	s_cselect_b32 s61, 1, 4                                    // 0000000076D8: 853D8481
	s_mul_i32 s60, s61, s60                                    // 0000000076DC: 923C3C3D
	v_readlane_b32 s82, v3, 0                                  // 0000000076E0: D2890052 00010103
	s_lshr_b32 s61, s82, 24                                    // 0000000076E8: 8F3D9852
	s_and_b32 s82, s82, 0xffffff                               // 0000000076EC: 8652FF52 00FFFFFF
	s_mul_i32 s82, s82, s71                                    // 0000000076F4: 92524752
	s_mul_i32 s61, s60, s61                                    // 0000000076F8: 923D3D3C
	s_add_u32 s82, s82, s61                                    // 0000000076FC: 80523D52
	v_mul_lo_u32 v6, v5, s82                                   // 000000007700: D2850006 0000A505
	v_readlane_b32 s82, v3, 1                                  // 000000007708: D2890052 00010303
	s_lshr_b32 s61, s82, 24                                    // 000000007710: 8F3D9852
	s_and_b32 s82, s82, 0xffffff                               // 000000007714: 8652FF52 00FFFFFF
	s_mul_i32 s82, s82, s71                                    // 00000000771C: 92524752
	s_mul_i32 s61, s60, s61                                    // 000000007720: 923D3D3C
	s_add_u32 s82, s82, s61                                    // 000000007724: 80523D52
	v_mul_lo_u32 v7, v4, s82                                   // 000000007728: D2850007 0000A504
	v_add_u32_e32 v46, v6, v7                                  // 000000007730: 685C0F06
	v_readlane_b32 s82, v3, 2                                  // 000000007734: D2890052 00010503
	s_lshr_b32 s61, s82, 24                                    // 00000000773C: 8F3D9852
	s_and_b32 s82, s82, 0xffffff                               // 000000007740: 8652FF52 00FFFFFF
	s_mul_i32 s82, s82, s71                                    // 000000007748: 92524752
	s_mul_i32 s61, s60, s61                                    // 00000000774C: 923D3D3C
	s_add_u32 s82, s82, s61                                    // 000000007750: 80523D52
	v_mul_lo_u32 v6, v5, s82                                   // 000000007754: D2850006 0000A505
	v_readlane_b32 s82, v3, 3                                  // 00000000775C: D2890052 00010703
	s_lshr_b32 s61, s82, 24                                    // 000000007764: 8F3D9852
	s_and_b32 s82, s82, 0xffffff                               // 000000007768: 8652FF52 00FFFFFF
	s_mul_i32 s82, s82, s71                                    // 000000007770: 92524752
	s_mul_i32 s61, s60, s61                                    // 000000007774: 923D3D3C
	s_add_u32 s82, s82, s61                                    // 000000007778: 80523D52
	v_mul_lo_u32 v7, v4, s82                                   // 00000000777C: D2850007 0000A504
	v_add_u32_e32 v47, v6, v7                                  // 000000007784: 685E0F06
	v_readlane_b32 s82, v3, 4                                  // 000000007788: D2890052 00010903
	s_lshr_b32 s61, s82, 24                                    // 000000007790: 8F3D9852
	s_and_b32 s82, s82, 0xffffff                               // 000000007794: 8652FF52 00FFFFFF
	s_mul_i32 s82, s82, s71                                    // 00000000779C: 92524752
	s_mul_i32 s61, s60, s61                                    // 0000000077A0: 923D3D3C
	s_add_u32 s82, s82, s61                                    // 0000000077A4: 80523D52
	v_mul_lo_u32 v6, v5, s82                                   // 0000000077A8: D2850006 0000A505
	v_readlane_b32 s82, v3, 5                                  // 0000000077B0: D2890052 00010B03
	s_lshr_b32 s61, s82, 24                                    // 0000000077B8: 8F3D9852
	s_and_b32 s82, s82, 0xffffff                               // 0000000077BC: 8652FF52 00FFFFFF
	s_mul_i32 s82, s82, s71                                    // 0000000077C4: 92524752
	s_mul_i32 s61, s60, s61                                    // 0000000077C8: 923D3D3C
	s_add_u32 s82, s82, s61                                    // 0000000077CC: 80523D52
	v_mul_lo_u32 v7, v4, s82                                   // 0000000077D0: D2850007 0000A504
	v_add_u32_e32 v48, v6, v7                                  // 0000000077D8: 68600F06
	v_readlane_b32 s82, v3, 6                                  // 0000000077DC: D2890052 00010D03
	s_lshr_b32 s61, s82, 24                                    // 0000000077E4: 8F3D9852
	s_and_b32 s82, s82, 0xffffff                               // 0000000077E8: 8652FF52 00FFFFFF
	s_mul_i32 s82, s82, s71                                    // 0000000077F0: 92524752
	s_mul_i32 s61, s60, s61                                    // 0000000077F4: 923D3D3C
	s_add_u32 s82, s82, s61                                    // 0000000077F8: 80523D52
	v_mul_lo_u32 v6, v5, s82                                   // 0000000077FC: D2850006 0000A505
	v_readlane_b32 s82, v3, 7                                  // 000000007804: D2890052 00010F03
	s_lshr_b32 s61, s82, 24                                    // 00000000780C: 8F3D9852
	s_and_b32 s82, s82, 0xffffff                               // 000000007810: 8652FF52 00FFFFFF
	s_mul_i32 s82, s82, s71                                    // 000000007818: 92524752
	s_mul_i32 s61, s60, s61                                    // 00000000781C: 923D3D3C
	s_add_u32 s82, s82, s61                                    // 000000007820: 80523D52
	v_mul_lo_u32 v7, v4, s82                                   // 000000007824: D2850007 0000A504
	v_add_u32_e32 v49, v6, v7                                  // 00000000782C: 68620F06
	v_readlane_b32 s82, v3, 8                                  // 000000007830: D2890052 00011103
	s_lshr_b32 s61, s82, 24                                    // 000000007838: 8F3D9852
	s_and_b32 s82, s82, 0xffffff                               // 00000000783C: 8652FF52 00FFFFFF
	s_mul_i32 s82, s82, s71                                    // 000000007844: 92524752
	s_mul_i32 s61, s60, s61                                    // 000000007848: 923D3D3C
	s_add_u32 s82, s82, s61                                    // 00000000784C: 80523D52
	v_mul_lo_u32 v6, v5, s82                                   // 000000007850: D2850006 0000A505
	v_readlane_b32 s82, v3, 9                                  // 000000007858: D2890052 00011303
	s_lshr_b32 s61, s82, 24                                    // 000000007860: 8F3D9852
	s_and_b32 s82, s82, 0xffffff                               // 000000007864: 8652FF52 00FFFFFF
	s_mul_i32 s82, s82, s71                                    // 00000000786C: 92524752
	s_mul_i32 s61, s60, s61                                    // 000000007870: 923D3D3C
	s_add_u32 s82, s82, s61                                    // 000000007874: 80523D52
	v_mul_lo_u32 v7, v4, s82                                   // 000000007878: D2850007 0000A504
	v_add_u32_e32 v50, v6, v7                                  // 000000007880: 68640F06
	v_readlane_b32 s82, v3, 10                                 // 000000007884: D2890052 00011503
	s_lshr_b32 s61, s82, 24                                    // 00000000788C: 8F3D9852
	s_and_b32 s82, s82, 0xffffff                               // 000000007890: 8652FF52 00FFFFFF
	s_mul_i32 s82, s82, s71                                    // 000000007898: 92524752
	s_mul_i32 s61, s60, s61                                    // 00000000789C: 923D3D3C
	s_add_u32 s82, s82, s61                                    // 0000000078A0: 80523D52
	v_mul_lo_u32 v6, v5, s82                                   // 0000000078A4: D2850006 0000A505
	v_readlane_b32 s82, v3, 11                                 // 0000000078AC: D2890052 00011703
	s_lshr_b32 s61, s82, 24                                    // 0000000078B4: 8F3D9852
	s_and_b32 s82, s82, 0xffffff                               // 0000000078B8: 8652FF52 00FFFFFF
	s_mul_i32 s82, s82, s71                                    // 0000000078C0: 92524752
	s_mul_i32 s61, s60, s61                                    // 0000000078C4: 923D3D3C
	s_add_u32 s82, s82, s61                                    // 0000000078C8: 80523D52
	v_mul_lo_u32 v7, v4, s82                                   // 0000000078CC: D2850007 0000A504
	v_add_u32_e32 v51, v6, v7                                  // 0000000078D4: 68660F06
	v_readlane_b32 s82, v3, 12                                 // 0000000078D8: D2890052 00011903
	s_lshr_b32 s61, s82, 24                                    // 0000000078E0: 8F3D9852
	s_and_b32 s82, s82, 0xffffff                               // 0000000078E4: 8652FF52 00FFFFFF
	s_mul_i32 s82, s82, s71                                    // 0000000078EC: 92524752
	s_mul_i32 s61, s60, s61                                    // 0000000078F0: 923D3D3C
	s_add_u32 s82, s82, s61                                    // 0000000078F4: 80523D52
	v_mul_lo_u32 v6, v5, s82                                   // 0000000078F8: D2850006 0000A505
	v_readlane_b32 s82, v3, 13                                 // 000000007900: D2890052 00011B03
	s_lshr_b32 s61, s82, 24                                    // 000000007908: 8F3D9852
	s_and_b32 s82, s82, 0xffffff                               // 00000000790C: 8652FF52 00FFFFFF
	s_mul_i32 s82, s82, s71                                    // 000000007914: 92524752
	s_mul_i32 s61, s60, s61                                    // 000000007918: 923D3D3C
	s_add_u32 s82, s82, s61                                    // 00000000791C: 80523D52
	v_mul_lo_u32 v7, v4, s82                                   // 000000007920: D2850007 0000A504
	v_add_u32_e32 v52, v6, v7                                  // 000000007928: 68680F06
	v_readlane_b32 s82, v3, 14                                 // 00000000792C: D2890052 00011D03
	s_lshr_b32 s61, s82, 24                                    // 000000007934: 8F3D9852
	s_and_b32 s82, s82, 0xffffff                               // 000000007938: 8652FF52 00FFFFFF
	s_mul_i32 s82, s82, s71                                    // 000000007940: 92524752
	s_mul_i32 s61, s60, s61                                    // 000000007944: 923D3D3C
	s_add_u32 s82, s82, s61                                    // 000000007948: 80523D52
	v_mul_lo_u32 v6, v5, s82                                   // 00000000794C: D2850006 0000A505
	v_readlane_b32 s82, v3, 15                                 // 000000007954: D2890052 00011F03
	s_lshr_b32 s61, s82, 24                                    // 00000000795C: 8F3D9852
	s_and_b32 s82, s82, 0xffffff                               // 000000007960: 8652FF52 00FFFFFF
	s_mul_i32 s82, s82, s71                                    // 000000007968: 92524752
	s_mul_i32 s61, s60, s61                                    // 00000000796C: 923D3D3C
	s_add_u32 s82, s82, s61                                    // 000000007970: 80523D52
	v_mul_lo_u32 v7, v4, s82                                   // 000000007974: D2850007 0000A504
	v_add_u32_e32 v53, v6, v7                                  // 00000000797C: 686A0F06
	v_and_b32_e32 v4, 31, v0                                   // 000000007980: 2608009F
	v_lshrrev_b32_e32 v4, 1, v4                                // 000000007984: 20080881
	s_cmp_eq_u32 s88, 0                                        // 000000007988: BF068058
	s_cselect_b32 s61, 2, 4                                    // 00000000798C: 853D8482
	v_mul_lo_u32 v4, v4, s61                                   // 000000007990: D2850004 00007B04
	v_and_b32_e64 v5, v0, 1                                    // 000000007998: D1130005 00010300
	v_add_u32_e32 v4, v4, v5                                   // 0000000079A0: 68080B04
	v_lshlrev_b32_e32 v4, 2, v4                                // 0000000079A4: 24080882
	v_add_u32_e32 v46, v46, v4                                 // 0000000079A8: 685C092E
	v_add_u32_e32 v47, v47, v4                                 // 0000000079AC: 685E092F
	v_add_u32_e32 v48, v48, v4                                 // 0000000079B0: 68600930
	v_add_u32_e32 v49, v49, v4                                 // 0000000079B4: 68620931
	v_add_u32_e32 v50, v50, v4                                 // 0000000079B8: 68640932
	v_add_u32_e32 v51, v51, v4                                 // 0000000079BC: 68660933
	v_add_u32_e32 v52, v52, v4                                 // 0000000079C0: 68680934
	v_add_u32_e32 v53, v53, v4                                 // 0000000079C4: 686A0935
	s_waitcnt lgkmcnt(0)                                       // 0000000079C8: BF8CC07F
	s_barrier                                                  // 0000000079CC: BF8A0000
	ds_read_b32 v60, v21                                       // 0000000079D0: D86C0000 3C000015
	ds_read_b32 v61, v21 offset:64                             // 0000000079D8: D86C0040 3D000015
	ds_read_b32 v62, v21 offset:2176                           // 0000000079E0: D86C0880 3E000015
	ds_read_b32 v63, v21 offset:2240                           // 0000000079E8: D86C08C0 3F000015
	ds_read_b32 v64, v21 offset:4352                           // 0000000079F0: D86C1100 40000015
	ds_read_b32 v65, v21 offset:4416                           // 0000000079F8: D86C1140 41000015
	ds_read_b32 v66, v21 offset:6528                           // 000000007A00: D86C1980 42000015
	ds_read_b32 v67, v21 offset:6592                           // 000000007A08: D86C19C0 43000015
	ds_read_b32 v68, v21 offset:8704                           // 000000007A10: D86C2200 44000015
	ds_read_b32 v69, v21 offset:8768                           // 000000007A18: D86C2240 45000015
	ds_read_b32 v70, v21 offset:10880                          // 000000007A20: D86C2A80 46000015
	ds_read_b32 v71, v21 offset:10944                          // 000000007A28: D86C2AC0 47000015
	ds_read_b32 v72, v21 offset:13056                          // 000000007A30: D86C3300 48000015
	ds_read_b32 v73, v21 offset:13120                          // 000000007A38: D86C3340 49000015
	ds_read_b32 v74, v21 offset:15232                          // 000000007A40: D86C3B80 4A000015
	ds_read_b32 v75, v21 offset:15296                          // 000000007A48: D86C3BC0 4B000015
	ds_read_b32 v76, v21 offset:17408                          // 000000007A50: D86C4400 4C000015
	ds_read_b32 v77, v21 offset:17472                          // 000000007A58: D86C4440 4D000015
	ds_read_b32 v78, v21 offset:19584                          // 000000007A60: D86C4C80 4E000015
	ds_read_b32 v79, v21 offset:19648                          // 000000007A68: D86C4CC0 4F000015
	ds_read_b32 v80, v21 offset:21760                          // 000000007A70: D86C5500 50000015
	ds_read_b32 v81, v21 offset:21824                          // 000000007A78: D86C5540 51000015
	ds_read_b32 v82, v21 offset:23936                          // 000000007A80: D86C5D80 52000015
	ds_read_b32 v83, v21 offset:24000                          // 000000007A88: D86C5DC0 53000015
	ds_read_b32 v84, v21 offset:26112                          // 000000007A90: D86C6600 54000015
	ds_read_b32 v85, v21 offset:26176                          // 000000007A98: D86C6640 55000015
	ds_read_b32 v86, v21 offset:28288                          // 000000007AA0: D86C6E80 56000015
	ds_read_b32 v87, v21 offset:28352                          // 000000007AA8: D86C6EC0 57000015
	ds_read_b32 v88, v21 offset:30464                          // 000000007AB0: D86C7700 58000015
	ds_read_b32 v89, v21 offset:30528                          // 000000007AB8: D86C7740 59000015
	ds_read_b32 v90, v21 offset:32640                          // 000000007AC0: D86C7F80 5A000015
	ds_read_b32 v91, v21 offset:32704                          // 000000007AC8: D86C7FC0 5B000015
	s_waitcnt lgkmcnt(0)                                       // 000000007AD0: BF8CC07F
	s_mov_b32 s36, -1                                          // 000000007AD4: BEA400C1
	s_mov_b32 s37, -1                                          // 000000007AD8: BEA500C1
	v_mov_b32_e32 v7, 0                                        // 000000007ADC: 7E0E0280
	s_or_b32 s9, s9, 0x40000                                   // 000000007AE0: 8709FF09 00040000
	s_mov_b64 exec, s[36:37]                                   // 000000007AE8: BEFE0124
	v_mov_b32_e32 v6, v46                                      // 000000007AEC: 7E0C032E
	s_mov_b64 s[60:61], 0                                      // 000000007AF0: BEBC0180
	v_readlane_b32 s82, v3, 0                                  // 000000007AF4: D2890052 00010103
	s_and_b32 s82, s82, 0xffffff                               // 000000007AFC: 8652FF52 00FFFFFF
	s_cmp_lt_u32 s82, s66                                      // 000000007B04: BF0A4252
	s_cselect_b32 s20, s36, s60                                // 000000007B08: 85143C24
	v_readlane_b32 s82, v3, 1                                  // 000000007B0C: D2890052 00010303
	s_and_b32 s82, s82, 0xffffff                               // 000000007B14: 8652FF52 00FFFFFF
	s_cmp_lt_u32 s82, s66                                      // 000000007B1C: BF0A4252
	s_cselect_b32 s21, s36, s60                                // 000000007B20: 85153C24
	s_mov_b64 exec, s[20:21]                                   // 000000007B24: BEFE0114
	buffer_store_dword v60, v6, s[8:11], 0 offen               // 000000007B28: E0701000 80023C06
	buffer_store_dword v62, v6, s[8:11], 0 offen offset:128    // 000000007B30: E0701080 80023E06
	buffer_store_dword v64, v6, s[8:11], 0 offen offset:256    // 000000007B38: E0701100 80024006
	buffer_store_dword v66, v6, s[8:11], 0 offen offset:384    // 000000007B40: E0701180 80024206
	s_mov_b64 exec, s[36:37]                                   // 000000007B48: BEFE0124
	v_mov_b32_e32 v6, v47                                      // 000000007B4C: 7E0C032F
	s_mov_b64 s[60:61], 0                                      // 000000007B50: BEBC0180
	v_readlane_b32 s82, v3, 2                                  // 000000007B54: D2890052 00010503
	s_and_b32 s82, s82, 0xffffff                               // 000000007B5C: 8652FF52 00FFFFFF
	s_cmp_lt_u32 s82, s66                                      // 000000007B64: BF0A4252
	s_cselect_b32 s20, s36, s60                                // 000000007B68: 85143C24
	v_readlane_b32 s82, v3, 3                                  // 000000007B6C: D2890052 00010703
	s_and_b32 s82, s82, 0xffffff                               // 000000007B74: 8652FF52 00FFFFFF
	s_cmp_lt_u32 s82, s66                                      // 000000007B7C: BF0A4252
	s_cselect_b32 s21, s36, s60                                // 000000007B80: 85153C24
	s_mov_b64 exec, s[20:21]                                   // 000000007B84: BEFE0114
	buffer_store_dword v61, v6, s[8:11], 0 offen               // 000000007B88: E0701000 80023D06
	buffer_store_dword v63, v6, s[8:11], 0 offen offset:128    // 000000007B90: E0701080 80023F06
	buffer_store_dword v65, v6, s[8:11], 0 offen offset:256    // 000000007B98: E0701100 80024106
	buffer_store_dword v67, v6, s[8:11], 0 offen offset:384    // 000000007BA0: E0701180 80024306
	s_mov_b64 exec, s[36:37]                                   // 000000007BA8: BEFE0124
	v_mov_b32_e32 v6, v48                                      // 000000007BAC: 7E0C0330
	s_mov_b64 s[60:61], 0                                      // 000000007BB0: BEBC0180
	v_readlane_b32 s82, v3, 4                                  // 000000007BB4: D2890052 00010903
	s_and_b32 s82, s82, 0xffffff                               // 000000007BBC: 8652FF52 00FFFFFF
	s_cmp_lt_u32 s82, s66                                      // 000000007BC4: BF0A4252
	s_cselect_b32 s20, s36, s60                                // 000000007BC8: 85143C24
	v_readlane_b32 s82, v3, 5                                  // 000000007BCC: D2890052 00010B03
	s_and_b32 s82, s82, 0xffffff                               // 000000007BD4: 8652FF52 00FFFFFF
	s_cmp_lt_u32 s82, s66                                      // 000000007BDC: BF0A4252
	s_cselect_b32 s21, s36, s60                                // 000000007BE0: 85153C24
	s_mov_b64 exec, s[20:21]                                   // 000000007BE4: BEFE0114
	buffer_store_dword v68, v6, s[8:11], 0 offen               // 000000007BE8: E0701000 80024406
	buffer_store_dword v70, v6, s[8:11], 0 offen offset:128    // 000000007BF0: E0701080 80024606
	buffer_store_dword v72, v6, s[8:11], 0 offen offset:256    // 000000007BF8: E0701100 80024806
	buffer_store_dword v74, v6, s[8:11], 0 offen offset:384    // 000000007C00: E0701180 80024A06
	s_mov_b64 exec, s[36:37]                                   // 000000007C08: BEFE0124
	v_mov_b32_e32 v6, v49                                      // 000000007C0C: 7E0C0331
	s_mov_b64 s[60:61], 0                                      // 000000007C10: BEBC0180
	v_readlane_b32 s82, v3, 6                                  // 000000007C14: D2890052 00010D03
	s_and_b32 s82, s82, 0xffffff                               // 000000007C1C: 8652FF52 00FFFFFF
	s_cmp_lt_u32 s82, s66                                      // 000000007C24: BF0A4252
	s_cselect_b32 s20, s36, s60                                // 000000007C28: 85143C24
	v_readlane_b32 s82, v3, 7                                  // 000000007C2C: D2890052 00010F03
	s_and_b32 s82, s82, 0xffffff                               // 000000007C34: 8652FF52 00FFFFFF
	s_cmp_lt_u32 s82, s66                                      // 000000007C3C: BF0A4252
	s_cselect_b32 s21, s36, s60                                // 000000007C40: 85153C24
	s_mov_b64 exec, s[20:21]                                   // 000000007C44: BEFE0114
	buffer_store_dword v69, v6, s[8:11], 0 offen               // 000000007C48: E0701000 80024506
	buffer_store_dword v71, v6, s[8:11], 0 offen offset:128    // 000000007C50: E0701080 80024706
	buffer_store_dword v73, v6, s[8:11], 0 offen offset:256    // 000000007C58: E0701100 80024906
	buffer_store_dword v75, v6, s[8:11], 0 offen offset:384    // 000000007C60: E0701180 80024B06
	s_mov_b64 exec, s[36:37]                                   // 000000007C68: BEFE0124
	v_mov_b32_e32 v6, v50                                      // 000000007C6C: 7E0C0332
	s_mov_b64 s[60:61], 0                                      // 000000007C70: BEBC0180
	v_readlane_b32 s82, v3, 8                                  // 000000007C74: D2890052 00011103
	s_and_b32 s82, s82, 0xffffff                               // 000000007C7C: 8652FF52 00FFFFFF
	s_cmp_lt_u32 s82, s66                                      // 000000007C84: BF0A4252
	s_cselect_b32 s20, s36, s60                                // 000000007C88: 85143C24
	v_readlane_b32 s82, v3, 9                                  // 000000007C8C: D2890052 00011303
	s_and_b32 s82, s82, 0xffffff                               // 000000007C94: 8652FF52 00FFFFFF
	s_cmp_lt_u32 s82, s66                                      // 000000007C9C: BF0A4252
	s_cselect_b32 s21, s36, s60                                // 000000007CA0: 85153C24
	s_mov_b64 exec, s[20:21]                                   // 000000007CA4: BEFE0114
	buffer_store_dword v76, v6, s[8:11], 0 offen               // 000000007CA8: E0701000 80024C06
	buffer_store_dword v78, v6, s[8:11], 0 offen offset:128    // 000000007CB0: E0701080 80024E06
	buffer_store_dword v80, v6, s[8:11], 0 offen offset:256    // 000000007CB8: E0701100 80025006
	buffer_store_dword v82, v6, s[8:11], 0 offen offset:384    // 000000007CC0: E0701180 80025206
	s_mov_b64 exec, s[36:37]                                   // 000000007CC8: BEFE0124
	v_mov_b32_e32 v6, v51                                      // 000000007CCC: 7E0C0333
	s_mov_b64 s[60:61], 0                                      // 000000007CD0: BEBC0180
	v_readlane_b32 s82, v3, 10                                 // 000000007CD4: D2890052 00011503
	s_and_b32 s82, s82, 0xffffff                               // 000000007CDC: 8652FF52 00FFFFFF
	s_cmp_lt_u32 s82, s66                                      // 000000007CE4: BF0A4252
	s_cselect_b32 s20, s36, s60                                // 000000007CE8: 85143C24
	v_readlane_b32 s82, v3, 11                                 // 000000007CEC: D2890052 00011703
	s_and_b32 s82, s82, 0xffffff                               // 000000007CF4: 8652FF52 00FFFFFF
	s_cmp_lt_u32 s82, s66                                      // 000000007CFC: BF0A4252
	s_cselect_b32 s21, s36, s60                                // 000000007D00: 85153C24
	s_mov_b64 exec, s[20:21]                                   // 000000007D04: BEFE0114
	buffer_store_dword v77, v6, s[8:11], 0 offen               // 000000007D08: E0701000 80024D06
	buffer_store_dword v79, v6, s[8:11], 0 offen offset:128    // 000000007D10: E0701080 80024F06
	buffer_store_dword v81, v6, s[8:11], 0 offen offset:256    // 000000007D18: E0701100 80025106
	buffer_store_dword v83, v6, s[8:11], 0 offen offset:384    // 000000007D20: E0701180 80025306
	s_mov_b64 exec, s[36:37]                                   // 000000007D28: BEFE0124
	v_mov_b32_e32 v6, v52                                      // 000000007D2C: 7E0C0334
	s_mov_b64 s[60:61], 0                                      // 000000007D30: BEBC0180
	v_readlane_b32 s82, v3, 12                                 // 000000007D34: D2890052 00011903
	s_and_b32 s82, s82, 0xffffff                               // 000000007D3C: 8652FF52 00FFFFFF
	s_cmp_lt_u32 s82, s66                                      // 000000007D44: BF0A4252
	s_cselect_b32 s20, s36, s60                                // 000000007D48: 85143C24
	v_readlane_b32 s82, v3, 13                                 // 000000007D4C: D2890052 00011B03
	s_and_b32 s82, s82, 0xffffff                               // 000000007D54: 8652FF52 00FFFFFF
	s_cmp_lt_u32 s82, s66                                      // 000000007D5C: BF0A4252
	s_cselect_b32 s21, s36, s60                                // 000000007D60: 85153C24
	s_mov_b64 exec, s[20:21]                                   // 000000007D64: BEFE0114
	buffer_store_dword v84, v6, s[8:11], 0 offen               // 000000007D68: E0701000 80025406
	buffer_store_dword v86, v6, s[8:11], 0 offen offset:128    // 000000007D70: E0701080 80025606
	buffer_store_dword v88, v6, s[8:11], 0 offen offset:256    // 000000007D78: E0701100 80025806
	buffer_store_dword v90, v6, s[8:11], 0 offen offset:384    // 000000007D80: E0701180 80025A06
	s_mov_b64 exec, s[36:37]                                   // 000000007D88: BEFE0124
	v_mov_b32_e32 v6, v53                                      // 000000007D8C: 7E0C0335
	s_mov_b64 s[60:61], 0                                      // 000000007D90: BEBC0180
	v_readlane_b32 s82, v3, 14                                 // 000000007D94: D2890052 00011D03
	s_and_b32 s82, s82, 0xffffff                               // 000000007D9C: 8652FF52 00FFFFFF
	s_cmp_lt_u32 s82, s66                                      // 000000007DA4: BF0A4252
	s_cselect_b32 s20, s36, s60                                // 000000007DA8: 85143C24
	v_readlane_b32 s82, v3, 15                                 // 000000007DAC: D2890052 00011F03
	s_and_b32 s82, s82, 0xffffff                               // 000000007DB4: 8652FF52 00FFFFFF
	s_cmp_lt_u32 s82, s66                                      // 000000007DBC: BF0A4252
	s_cselect_b32 s21, s36, s60                                // 000000007DC0: 85153C24
	s_mov_b64 exec, s[20:21]                                   // 000000007DC4: BEFE0114
	buffer_store_dword v85, v6, s[8:11], 0 offen               // 000000007DC8: E0701000 80025506
	buffer_store_dword v87, v6, s[8:11], 0 offen offset:128    // 000000007DD0: E0701080 80025706
	buffer_store_dword v89, v6, s[8:11], 0 offen offset:256    // 000000007DD8: E0701100 80025906
	buffer_store_dword v91, v6, s[8:11], 0 offen offset:384    // 000000007DE0: E0701180 80025B06
	s_mov_b64 exec, s[36:37]                                   // 000000007DE8: BEFE0124
	s_branch label_31DD                                        // 000000007DEC: BF821CDE

0000000000007df0 <label_14FC>:
	ds_write_b64 v20, v[60:61]                                 // 000000007DF0: D89A0000 00003C14
	ds_write_b64 v20, v[64:65] offset:8704                     // 000000007DF8: D89A2200 00004014
	ds_write_b64 v20, v[68:69] offset:17408                    // 000000007E00: D89A4400 00004414
	ds_write_b64 v20, v[72:73] offset:26112                    // 000000007E08: D89A6600 00004814
	ds_write_b64 v20, v[76:77] offset:2176                     // 000000007E10: D89A0880 00004C14
	ds_write_b64 v20, v[80:81] offset:10880                    // 000000007E18: D89A2A80 00005014
	ds_write_b64 v20, v[84:85] offset:19584                    // 000000007E20: D89A4C80 00005414
	ds_write_b64 v20, v[88:89] offset:28288                    // 000000007E28: D89A6E80 00005814
	ds_write_b64 v20, v[92:93] offset:4352                     // 000000007E30: D89A1100 00005C14
	ds_write_b64 v20, v[96:97] offset:13056                    // 000000007E38: D89A3300 00006014
	ds_write_b64 v20, v[100:101] offset:21760                  // 000000007E40: D89A5500 00006414
	ds_write_b64 v20, v[104:105] offset:30464                  // 000000007E48: D89A7700 00006814
	ds_write_b64 v20, v[108:109] offset:6528                   // 000000007E50: D89A1980 00006C14
	ds_write_b64 v20, v[112:113] offset:15232                  // 000000007E58: D89A3B80 00007014
	ds_write_b64 v20, v[116:117] offset:23936                  // 000000007E60: D89A5D80 00007414
	ds_write_b64 v20, v[120:121] offset:32640                  // 000000007E68: D89A7F80 00007814
	v_lshrrev_b32_e32 v4, 5, v0                                // 000000007E70: 20080085
	v_xor_b32_e32 v5, 1, v4                                    // 000000007E74: 2A0A0881
	s_mul_i32 s60, s65, 2                                      // 000000007E78: 923C8241
	s_cmp_eq_u32 s88, 0                                        // 000000007E7C: BF068058
	s_cselect_b32 s61, 1, 4                                    // 000000007E80: 853D8481
	s_mul_i32 s60, s61, s60                                    // 000000007E84: 923C3C3D
	v_readlane_b32 s82, v3, 0                                  // 000000007E88: D2890052 00010103
	s_lshr_b32 s61, s82, 24                                    // 000000007E90: 8F3D9852
	s_and_b32 s82, s82, 0xffffff                               // 000000007E94: 8652FF52 00FFFFFF
	s_mul_i32 s82, s82, s71                                    // 000000007E9C: 92524752
	s_mul_i32 s61, s60, s61                                    // 000000007EA0: 923D3D3C
	s_add_u32 s82, s82, s61                                    // 000000007EA4: 80523D52
	v_mul_lo_u32 v6, v5, s82                                   // 000000007EA8: D2850006 0000A505
	v_readlane_b32 s82, v3, 1                                  // 000000007EB0: D2890052 00010303
	s_lshr_b32 s61, s82, 24                                    // 000000007EB8: 8F3D9852
	s_and_b32 s82, s82, 0xffffff                               // 000000007EBC: 8652FF52 00FFFFFF
	s_mul_i32 s82, s82, s71                                    // 000000007EC4: 92524752
	s_mul_i32 s61, s60, s61                                    // 000000007EC8: 923D3D3C
	s_add_u32 s82, s82, s61                                    // 000000007ECC: 80523D52
	v_mul_lo_u32 v7, v4, s82                                   // 000000007ED0: D2850007 0000A504
	v_add_u32_e32 v46, v6, v7                                  // 000000007ED8: 685C0F06
	v_readlane_b32 s82, v3, 2                                  // 000000007EDC: D2890052 00010503
	s_lshr_b32 s61, s82, 24                                    // 000000007EE4: 8F3D9852
	s_and_b32 s82, s82, 0xffffff                               // 000000007EE8: 8652FF52 00FFFFFF
	s_mul_i32 s82, s82, s71                                    // 000000007EF0: 92524752
	s_mul_i32 s61, s60, s61                                    // 000000007EF4: 923D3D3C
	s_add_u32 s82, s82, s61                                    // 000000007EF8: 80523D52
	v_mul_lo_u32 v6, v5, s82                                   // 000000007EFC: D2850006 0000A505
	v_readlane_b32 s82, v3, 3                                  // 000000007F04: D2890052 00010703
	s_lshr_b32 s61, s82, 24                                    // 000000007F0C: 8F3D9852
	s_and_b32 s82, s82, 0xffffff                               // 000000007F10: 8652FF52 00FFFFFF
	s_mul_i32 s82, s82, s71                                    // 000000007F18: 92524752
	s_mul_i32 s61, s60, s61                                    // 000000007F1C: 923D3D3C
	s_add_u32 s82, s82, s61                                    // 000000007F20: 80523D52
	v_mul_lo_u32 v7, v4, s82                                   // 000000007F24: D2850007 0000A504
	v_add_u32_e32 v47, v6, v7                                  // 000000007F2C: 685E0F06
	v_readlane_b32 s82, v3, 4                                  // 000000007F30: D2890052 00010903
	s_lshr_b32 s61, s82, 24                                    // 000000007F38: 8F3D9852
	s_and_b32 s82, s82, 0xffffff                               // 000000007F3C: 8652FF52 00FFFFFF
	s_mul_i32 s82, s82, s71                                    // 000000007F44: 92524752
	s_mul_i32 s61, s60, s61                                    // 000000007F48: 923D3D3C
	s_add_u32 s82, s82, s61                                    // 000000007F4C: 80523D52
	v_mul_lo_u32 v6, v5, s82                                   // 000000007F50: D2850006 0000A505
	v_readlane_b32 s82, v3, 5                                  // 000000007F58: D2890052 00010B03
	s_lshr_b32 s61, s82, 24                                    // 000000007F60: 8F3D9852
	s_and_b32 s82, s82, 0xffffff                               // 000000007F64: 8652FF52 00FFFFFF
	s_mul_i32 s82, s82, s71                                    // 000000007F6C: 92524752
	s_mul_i32 s61, s60, s61                                    // 000000007F70: 923D3D3C
	s_add_u32 s82, s82, s61                                    // 000000007F74: 80523D52
	v_mul_lo_u32 v7, v4, s82                                   // 000000007F78: D2850007 0000A504
	v_add_u32_e32 v48, v6, v7                                  // 000000007F80: 68600F06
	v_readlane_b32 s82, v3, 6                                  // 000000007F84: D2890052 00010D03
	s_lshr_b32 s61, s82, 24                                    // 000000007F8C: 8F3D9852
	s_and_b32 s82, s82, 0xffffff                               // 000000007F90: 8652FF52 00FFFFFF
	s_mul_i32 s82, s82, s71                                    // 000000007F98: 92524752
	s_mul_i32 s61, s60, s61                                    // 000000007F9C: 923D3D3C
	s_add_u32 s82, s82, s61                                    // 000000007FA0: 80523D52
	v_mul_lo_u32 v6, v5, s82                                   // 000000007FA4: D2850006 0000A505
	v_readlane_b32 s82, v3, 7                                  // 000000007FAC: D2890052 00010F03
	s_lshr_b32 s61, s82, 24                                    // 000000007FB4: 8F3D9852
	s_and_b32 s82, s82, 0xffffff                               // 000000007FB8: 8652FF52 00FFFFFF
	s_mul_i32 s82, s82, s71                                    // 000000007FC0: 92524752
	s_mul_i32 s61, s60, s61                                    // 000000007FC4: 923D3D3C
	s_add_u32 s82, s82, s61                                    // 000000007FC8: 80523D52
	v_mul_lo_u32 v7, v4, s82                                   // 000000007FCC: D2850007 0000A504
	v_add_u32_e32 v49, v6, v7                                  // 000000007FD4: 68620F06
	v_readlane_b32 s82, v3, 8                                  // 000000007FD8: D2890052 00011103
	s_lshr_b32 s61, s82, 24                                    // 000000007FE0: 8F3D9852
	s_and_b32 s82, s82, 0xffffff                               // 000000007FE4: 8652FF52 00FFFFFF
	s_mul_i32 s82, s82, s71                                    // 000000007FEC: 92524752
	s_mul_i32 s61, s60, s61                                    // 000000007FF0: 923D3D3C
	s_add_u32 s82, s82, s61                                    // 000000007FF4: 80523D52
	v_mul_lo_u32 v6, v5, s82                                   // 000000007FF8: D2850006 0000A505
	v_readlane_b32 s82, v3, 9                                  // 000000008000: D2890052 00011303
	s_lshr_b32 s61, s82, 24                                    // 000000008008: 8F3D9852
	s_and_b32 s82, s82, 0xffffff                               // 00000000800C: 8652FF52 00FFFFFF
	s_mul_i32 s82, s82, s71                                    // 000000008014: 92524752
	s_mul_i32 s61, s60, s61                                    // 000000008018: 923D3D3C
	s_add_u32 s82, s82, s61                                    // 00000000801C: 80523D52
	v_mul_lo_u32 v7, v4, s82                                   // 000000008020: D2850007 0000A504
	v_add_u32_e32 v50, v6, v7                                  // 000000008028: 68640F06
	v_readlane_b32 s82, v3, 10                                 // 00000000802C: D2890052 00011503
	s_lshr_b32 s61, s82, 24                                    // 000000008034: 8F3D9852
	s_and_b32 s82, s82, 0xffffff                               // 000000008038: 8652FF52 00FFFFFF
	s_mul_i32 s82, s82, s71                                    // 000000008040: 92524752
	s_mul_i32 s61, s60, s61                                    // 000000008044: 923D3D3C
	s_add_u32 s82, s82, s61                                    // 000000008048: 80523D52
	v_mul_lo_u32 v6, v5, s82                                   // 00000000804C: D2850006 0000A505
	v_readlane_b32 s82, v3, 11                                 // 000000008054: D2890052 00011703
	s_lshr_b32 s61, s82, 24                                    // 00000000805C: 8F3D9852
	s_and_b32 s82, s82, 0xffffff                               // 000000008060: 8652FF52 00FFFFFF
	s_mul_i32 s82, s82, s71                                    // 000000008068: 92524752
	s_mul_i32 s61, s60, s61                                    // 00000000806C: 923D3D3C
	s_add_u32 s82, s82, s61                                    // 000000008070: 80523D52
	v_mul_lo_u32 v7, v4, s82                                   // 000000008074: D2850007 0000A504
	v_add_u32_e32 v51, v6, v7                                  // 00000000807C: 68660F06
	v_readlane_b32 s82, v3, 12                                 // 000000008080: D2890052 00011903
	s_lshr_b32 s61, s82, 24                                    // 000000008088: 8F3D9852
	s_and_b32 s82, s82, 0xffffff                               // 00000000808C: 8652FF52 00FFFFFF
	s_mul_i32 s82, s82, s71                                    // 000000008094: 92524752
	s_mul_i32 s61, s60, s61                                    // 000000008098: 923D3D3C
	s_add_u32 s82, s82, s61                                    // 00000000809C: 80523D52
	v_mul_lo_u32 v6, v5, s82                                   // 0000000080A0: D2850006 0000A505
	v_readlane_b32 s82, v3, 13                                 // 0000000080A8: D2890052 00011B03
	s_lshr_b32 s61, s82, 24                                    // 0000000080B0: 8F3D9852
	s_and_b32 s82, s82, 0xffffff                               // 0000000080B4: 8652FF52 00FFFFFF
	s_mul_i32 s82, s82, s71                                    // 0000000080BC: 92524752
	s_mul_i32 s61, s60, s61                                    // 0000000080C0: 923D3D3C
	s_add_u32 s82, s82, s61                                    // 0000000080C4: 80523D52
	v_mul_lo_u32 v7, v4, s82                                   // 0000000080C8: D2850007 0000A504
	v_add_u32_e32 v52, v6, v7                                  // 0000000080D0: 68680F06
	v_readlane_b32 s82, v3, 14                                 // 0000000080D4: D2890052 00011D03
	s_lshr_b32 s61, s82, 24                                    // 0000000080DC: 8F3D9852
	s_and_b32 s82, s82, 0xffffff                               // 0000000080E0: 8652FF52 00FFFFFF
	s_mul_i32 s82, s82, s71                                    // 0000000080E8: 92524752
	s_mul_i32 s61, s60, s61                                    // 0000000080EC: 923D3D3C
	s_add_u32 s82, s82, s61                                    // 0000000080F0: 80523D52
	v_mul_lo_u32 v6, v5, s82                                   // 0000000080F4: D2850006 0000A505
	v_readlane_b32 s82, v3, 15                                 // 0000000080FC: D2890052 00011F03
	s_lshr_b32 s61, s82, 24                                    // 000000008104: 8F3D9852
	s_and_b32 s82, s82, 0xffffff                               // 000000008108: 8652FF52 00FFFFFF
	s_mul_i32 s82, s82, s71                                    // 000000008110: 92524752
	s_mul_i32 s61, s60, s61                                    // 000000008114: 923D3D3C
	s_add_u32 s82, s82, s61                                    // 000000008118: 80523D52
	v_mul_lo_u32 v7, v4, s82                                   // 00000000811C: D2850007 0000A504
	v_add_u32_e32 v53, v6, v7                                  // 000000008124: 686A0F06
	v_and_b32_e32 v4, 31, v0                                   // 000000008128: 2608009F
	v_lshrrev_b32_e32 v4, 1, v4                                // 00000000812C: 20080881
	s_cmp_eq_u32 s88, 0                                        // 000000008130: BF068058
	s_cselect_b32 s61, 2, 4                                    // 000000008134: 853D8482
	v_mul_lo_u32 v4, v4, s61                                   // 000000008138: D2850004 00007B04
	v_and_b32_e64 v5, v0, 1                                    // 000000008140: D1130005 00010300
	v_add_u32_e32 v4, v4, v5                                   // 000000008148: 68080B04
	v_lshlrev_b32_e32 v4, 2, v4                                // 00000000814C: 24080882
	v_add_u32_e32 v46, v46, v4                                 // 000000008150: 685C092E
	v_add_u32_e32 v47, v47, v4                                 // 000000008154: 685E092F
	v_add_u32_e32 v48, v48, v4                                 // 000000008158: 68600930
	v_add_u32_e32 v49, v49, v4                                 // 00000000815C: 68620931
	v_add_u32_e32 v50, v50, v4                                 // 000000008160: 68640932
	v_add_u32_e32 v51, v51, v4                                 // 000000008164: 68660933
	;; [unrolled: 1-line block ×3, first 2 shown]
	v_add_u32_e32 v53, v53, v4                                 // 00000000816C: 686A0935
	s_waitcnt lgkmcnt(0)                                       // 000000008170: BF8CC07F
	s_barrier                                                  // 000000008174: BF8A0000
	ds_read_b32 v60, v21                                       // 000000008178: D86C0000 3C000015
	ds_read_b32 v61, v21 offset:64                             // 000000008180: D86C0040 3D000015
	ds_read_b32 v64, v21 offset:2176                           // 000000008188: D86C0880 40000015
	ds_read_b32 v65, v21 offset:2240                           // 000000008190: D86C08C0 41000015
	ds_read_b32 v68, v21 offset:4352                           // 000000008198: D86C1100 44000015
	ds_read_b32 v69, v21 offset:4416                           // 0000000081A0: D86C1140 45000015
	ds_read_b32 v72, v21 offset:6528                           // 0000000081A8: D86C1980 48000015
	ds_read_b32 v73, v21 offset:6592                           // 0000000081B0: D86C19C0 49000015
	ds_read_b32 v76, v21 offset:8704                           // 0000000081B8: D86C2200 4C000015
	ds_read_b32 v77, v21 offset:8768                           // 0000000081C0: D86C2240 4D000015
	ds_read_b32 v80, v21 offset:10880                          // 0000000081C8: D86C2A80 50000015
	ds_read_b32 v81, v21 offset:10944                          // 0000000081D0: D86C2AC0 51000015
	ds_read_b32 v84, v21 offset:13056                          // 0000000081D8: D86C3300 54000015
	ds_read_b32 v85, v21 offset:13120                          // 0000000081E0: D86C3340 55000015
	ds_read_b32 v88, v21 offset:15232                          // 0000000081E8: D86C3B80 58000015
	ds_read_b32 v89, v21 offset:15296                          // 0000000081F0: D86C3BC0 59000015
	ds_read_b32 v92, v21 offset:17408                          // 0000000081F8: D86C4400 5C000015
	ds_read_b32 v93, v21 offset:17472                          // 000000008200: D86C4440 5D000015
	ds_read_b32 v96, v21 offset:19584                          // 000000008208: D86C4C80 60000015
	ds_read_b32 v97, v21 offset:19648                          // 000000008210: D86C4CC0 61000015
	ds_read_b32 v100, v21 offset:21760                         // 000000008218: D86C5500 64000015
	ds_read_b32 v101, v21 offset:21824                         // 000000008220: D86C5540 65000015
	ds_read_b32 v104, v21 offset:23936                         // 000000008228: D86C5D80 68000015
	ds_read_b32 v105, v21 offset:24000                         // 000000008230: D86C5DC0 69000015
	ds_read_b32 v108, v21 offset:26112                         // 000000008238: D86C6600 6C000015
	ds_read_b32 v109, v21 offset:26176                         // 000000008240: D86C6640 6D000015
	ds_read_b32 v112, v21 offset:28288                         // 000000008248: D86C6E80 70000015
	ds_read_b32 v113, v21 offset:28352                         // 000000008250: D86C6EC0 71000015
	ds_read_b32 v116, v21 offset:30464                         // 000000008258: D86C7700 74000015
	ds_read_b32 v117, v21 offset:30528                         // 000000008260: D86C7740 75000015
	ds_read_b32 v120, v21 offset:32640                         // 000000008268: D86C7F80 78000015
	ds_read_b32 v121, v21 offset:32704                         // 000000008270: D86C7FC0 79000015
	s_waitcnt lgkmcnt(0)                                       // 000000008278: BF8CC07F
	s_mov_b32 s36, -1                                          // 00000000827C: BEA400C1
	s_mov_b32 s37, -1                                          // 000000008280: BEA500C1
	v_mov_b32_e32 v7, 0                                        // 000000008284: 7E0E0280
	s_mov_b64 exec, s[36:37]                                   // 000000008288: BEFE0124
	v_mov_b32_e32 v6, v46                                      // 00000000828C: 7E0C032E
	s_mov_b64 s[60:61], 0                                      // 000000008290: BEBC0180
	v_readlane_b32 s82, v3, 0                                  // 000000008294: D2890052 00010103
	s_and_b32 s82, s82, 0xffffff                               // 00000000829C: 8652FF52 00FFFFFF
	s_cmp_lt_u32 s82, s66                                      // 0000000082A4: BF0A4252
	s_cselect_b32 s20, s36, s60                                // 0000000082A8: 85143C24
	v_readlane_b32 s82, v3, 1                                  // 0000000082AC: D2890052 00010303
	s_and_b32 s82, s82, 0xffffff                               // 0000000082B4: 8652FF52 00FFFFFF
	s_cmp_lt_u32 s82, s66                                      // 0000000082BC: BF0A4252
	s_cselect_b32 s21, s36, s60                                // 0000000082C0: 85153C24
	s_mov_b64 exec, s[20:21]                                   // 0000000082C4: BEFE0114
	global_atomic_add_f32 v6, v60, s[8:9]                      // 0000000082C8: DD348000 00083C06
	global_atomic_add_f32 v6, v64, s[8:9] offset:256           // 0000000082D0: DD348100 00084006
	global_atomic_add_f32 v6, v68, s[8:9] offset:512           // 0000000082D8: DD348200 00084406
	global_atomic_add_f32 v6, v72, s[8:9] offset:768           // 0000000082E0: DD348300 00084806
	s_mov_b64 exec, s[36:37]                                   // 0000000082E8: BEFE0124
	v_mov_b32_e32 v6, v47                                      // 0000000082EC: 7E0C032F
	s_mov_b64 s[60:61], 0                                      // 0000000082F0: BEBC0180
	v_readlane_b32 s82, v3, 2                                  // 0000000082F4: D2890052 00010503
	s_and_b32 s82, s82, 0xffffff                               // 0000000082FC: 8652FF52 00FFFFFF
	s_cmp_lt_u32 s82, s66                                      // 000000008304: BF0A4252
	s_cselect_b32 s20, s36, s60                                // 000000008308: 85143C24
	v_readlane_b32 s82, v3, 3                                  // 00000000830C: D2890052 00010703
	s_and_b32 s82, s82, 0xffffff                               // 000000008314: 8652FF52 00FFFFFF
	s_cmp_lt_u32 s82, s66                                      // 00000000831C: BF0A4252
	s_cselect_b32 s21, s36, s60                                // 000000008320: 85153C24
	s_mov_b64 exec, s[20:21]                                   // 000000008324: BEFE0114
	global_atomic_add_f32 v6, v61, s[8:9]                      // 000000008328: DD348000 00083D06
	global_atomic_add_f32 v6, v65, s[8:9] offset:256           // 000000008330: DD348100 00084106
	global_atomic_add_f32 v6, v69, s[8:9] offset:512           // 000000008338: DD348200 00084506
	global_atomic_add_f32 v6, v73, s[8:9] offset:768           // 000000008340: DD348300 00084906
	s_mov_b64 exec, s[36:37]                                   // 000000008348: BEFE0124
	v_mov_b32_e32 v6, v48                                      // 00000000834C: 7E0C0330
	s_mov_b64 s[60:61], 0                                      // 000000008350: BEBC0180
	v_readlane_b32 s82, v3, 4                                  // 000000008354: D2890052 00010903
	s_and_b32 s82, s82, 0xffffff                               // 00000000835C: 8652FF52 00FFFFFF
	s_cmp_lt_u32 s82, s66                                      // 000000008364: BF0A4252
	s_cselect_b32 s20, s36, s60                                // 000000008368: 85143C24
	v_readlane_b32 s82, v3, 5                                  // 00000000836C: D2890052 00010B03
	s_and_b32 s82, s82, 0xffffff                               // 000000008374: 8652FF52 00FFFFFF
	s_cmp_lt_u32 s82, s66                                      // 00000000837C: BF0A4252
	s_cselect_b32 s21, s36, s60                                // 000000008380: 85153C24
	s_mov_b64 exec, s[20:21]                                   // 000000008384: BEFE0114
	global_atomic_add_f32 v6, v76, s[8:9]                      // 000000008388: DD348000 00084C06
	global_atomic_add_f32 v6, v80, s[8:9] offset:256           // 000000008390: DD348100 00085006
	global_atomic_add_f32 v6, v84, s[8:9] offset:512           // 000000008398: DD348200 00085406
	global_atomic_add_f32 v6, v88, s[8:9] offset:768           // 0000000083A0: DD348300 00085806
	s_mov_b64 exec, s[36:37]                                   // 0000000083A8: BEFE0124
	v_mov_b32_e32 v6, v49                                      // 0000000083AC: 7E0C0331
	s_mov_b64 s[60:61], 0                                      // 0000000083B0: BEBC0180
	v_readlane_b32 s82, v3, 6                                  // 0000000083B4: D2890052 00010D03
	s_and_b32 s82, s82, 0xffffff                               // 0000000083BC: 8652FF52 00FFFFFF
	s_cmp_lt_u32 s82, s66                                      // 0000000083C4: BF0A4252
	s_cselect_b32 s20, s36, s60                                // 0000000083C8: 85143C24
	v_readlane_b32 s82, v3, 7                                  // 0000000083CC: D2890052 00010F03
	s_and_b32 s82, s82, 0xffffff                               // 0000000083D4: 8652FF52 00FFFFFF
	s_cmp_lt_u32 s82, s66                                      // 0000000083DC: BF0A4252
	s_cselect_b32 s21, s36, s60                                // 0000000083E0: 85153C24
	s_mov_b64 exec, s[20:21]                                   // 0000000083E4: BEFE0114
	global_atomic_add_f32 v6, v77, s[8:9]                      // 0000000083E8: DD348000 00084D06
	global_atomic_add_f32 v6, v81, s[8:9] offset:256           // 0000000083F0: DD348100 00085106
	global_atomic_add_f32 v6, v85, s[8:9] offset:512           // 0000000083F8: DD348200 00085506
	global_atomic_add_f32 v6, v89, s[8:9] offset:768           // 000000008400: DD348300 00085906
	s_mov_b64 exec, s[36:37]                                   // 000000008408: BEFE0124
	v_mov_b32_e32 v6, v50                                      // 00000000840C: 7E0C0332
	s_mov_b64 s[60:61], 0                                      // 000000008410: BEBC0180
	v_readlane_b32 s82, v3, 8                                  // 000000008414: D2890052 00011103
	s_and_b32 s82, s82, 0xffffff                               // 00000000841C: 8652FF52 00FFFFFF
	s_cmp_lt_u32 s82, s66                                      // 000000008424: BF0A4252
	s_cselect_b32 s20, s36, s60                                // 000000008428: 85143C24
	v_readlane_b32 s82, v3, 9                                  // 00000000842C: D2890052 00011303
	s_and_b32 s82, s82, 0xffffff                               // 000000008434: 8652FF52 00FFFFFF
	s_cmp_lt_u32 s82, s66                                      // 00000000843C: BF0A4252
	s_cselect_b32 s21, s36, s60                                // 000000008440: 85153C24
	s_mov_b64 exec, s[20:21]                                   // 000000008444: BEFE0114
	global_atomic_add_f32 v6, v92, s[8:9]                      // 000000008448: DD348000 00085C06
	global_atomic_add_f32 v6, v96, s[8:9] offset:256           // 000000008450: DD348100 00086006
	global_atomic_add_f32 v6, v100, s[8:9] offset:512          // 000000008458: DD348200 00086406
	global_atomic_add_f32 v6, v104, s[8:9] offset:768          // 000000008460: DD348300 00086806
	s_mov_b64 exec, s[36:37]                                   // 000000008468: BEFE0124
	v_mov_b32_e32 v6, v51                                      // 00000000846C: 7E0C0333
	s_mov_b64 s[60:61], 0                                      // 000000008470: BEBC0180
	v_readlane_b32 s82, v3, 10                                 // 000000008474: D2890052 00011503
	s_and_b32 s82, s82, 0xffffff                               // 00000000847C: 8652FF52 00FFFFFF
	s_cmp_lt_u32 s82, s66                                      // 000000008484: BF0A4252
	s_cselect_b32 s20, s36, s60                                // 000000008488: 85143C24
	v_readlane_b32 s82, v3, 11                                 // 00000000848C: D2890052 00011703
	s_and_b32 s82, s82, 0xffffff                               // 000000008494: 8652FF52 00FFFFFF
	s_cmp_lt_u32 s82, s66                                      // 00000000849C: BF0A4252
	s_cselect_b32 s21, s36, s60                                // 0000000084A0: 85153C24
	s_mov_b64 exec, s[20:21]                                   // 0000000084A4: BEFE0114
	global_atomic_add_f32 v6, v93, s[8:9]                      // 0000000084A8: DD348000 00085D06
	global_atomic_add_f32 v6, v97, s[8:9] offset:256           // 0000000084B0: DD348100 00086106
	global_atomic_add_f32 v6, v101, s[8:9] offset:512          // 0000000084B8: DD348200 00086506
	global_atomic_add_f32 v6, v105, s[8:9] offset:768          // 0000000084C0: DD348300 00086906
	s_mov_b64 exec, s[36:37]                                   // 0000000084C8: BEFE0124
	v_mov_b32_e32 v6, v52                                      // 0000000084CC: 7E0C0334
	s_mov_b64 s[60:61], 0                                      // 0000000084D0: BEBC0180
	v_readlane_b32 s82, v3, 12                                 // 0000000084D4: D2890052 00011903
	s_and_b32 s82, s82, 0xffffff                               // 0000000084DC: 8652FF52 00FFFFFF
	s_cmp_lt_u32 s82, s66                                      // 0000000084E4: BF0A4252
	s_cselect_b32 s20, s36, s60                                // 0000000084E8: 85143C24
	v_readlane_b32 s82, v3, 13                                 // 0000000084EC: D2890052 00011B03
	s_and_b32 s82, s82, 0xffffff                               // 0000000084F4: 8652FF52 00FFFFFF
	s_cmp_lt_u32 s82, s66                                      // 0000000084FC: BF0A4252
	s_cselect_b32 s21, s36, s60                                // 000000008500: 85153C24
	s_mov_b64 exec, s[20:21]                                   // 000000008504: BEFE0114
	global_atomic_add_f32 v6, v108, s[8:9]                     // 000000008508: DD348000 00086C06
	global_atomic_add_f32 v6, v112, s[8:9] offset:256          // 000000008510: DD348100 00087006
	global_atomic_add_f32 v6, v116, s[8:9] offset:512          // 000000008518: DD348200 00087406
	global_atomic_add_f32 v6, v120, s[8:9] offset:768          // 000000008520: DD348300 00087806
	s_mov_b64 exec, s[36:37]                                   // 000000008528: BEFE0124
	v_mov_b32_e32 v6, v53                                      // 00000000852C: 7E0C0335
	s_mov_b64 s[60:61], 0                                      // 000000008530: BEBC0180
	v_readlane_b32 s82, v3, 14                                 // 000000008534: D2890052 00011D03
	s_and_b32 s82, s82, 0xffffff                               // 00000000853C: 8652FF52 00FFFFFF
	s_cmp_lt_u32 s82, s66                                      // 000000008544: BF0A4252
	s_cselect_b32 s20, s36, s60                                // 000000008548: 85143C24
	v_readlane_b32 s82, v3, 15                                 // 00000000854C: D2890052 00011F03
	s_and_b32 s82, s82, 0xffffff                               // 000000008554: 8652FF52 00FFFFFF
	s_cmp_lt_u32 s82, s66                                      // 00000000855C: BF0A4252
	s_cselect_b32 s21, s36, s60                                // 000000008560: 85153C24
	s_mov_b64 exec, s[20:21]                                   // 000000008564: BEFE0114
	global_atomic_add_f32 v6, v109, s[8:9]                     // 000000008568: DD348000 00086D06
	global_atomic_add_f32 v6, v113, s[8:9] offset:256          // 000000008570: DD348100 00087106
	global_atomic_add_f32 v6, v117, s[8:9] offset:512          // 000000008578: DD348200 00087506
	global_atomic_add_f32 v6, v121, s[8:9] offset:768          // 000000008580: DD348300 00087906
	s_mov_b64 exec, s[36:37]                                   // 000000008588: BEFE0124
	ds_write_b64 v20, v[62:63]                                 // 00000000858C: D89A0000 00003E14
	ds_write_b64 v20, v[66:67] offset:8704                     // 000000008594: D89A2200 00004214
	ds_write_b64 v20, v[70:71] offset:17408                    // 00000000859C: D89A4400 00004614
	ds_write_b64 v20, v[74:75] offset:26112                    // 0000000085A4: D89A6600 00004A14
	ds_write_b64 v20, v[78:79] offset:2176                     // 0000000085AC: D89A0880 00004E14
	ds_write_b64 v20, v[82:83] offset:10880                    // 0000000085B4: D89A2A80 00005214
	ds_write_b64 v20, v[86:87] offset:19584                    // 0000000085BC: D89A4C80 00005614
	ds_write_b64 v20, v[90:91] offset:28288                    // 0000000085C4: D89A6E80 00005A14
	ds_write_b64 v20, v[94:95] offset:4352                     // 0000000085CC: D89A1100 00005E14
	ds_write_b64 v20, v[98:99] offset:13056                    // 0000000085D4: D89A3300 00006214
	ds_write_b64 v20, v[102:103] offset:21760                  // 0000000085DC: D89A5500 00006614
	ds_write_b64 v20, v[106:107] offset:30464                  // 0000000085E4: D89A7700 00006A14
	ds_write_b64 v20, v[110:111] offset:6528                   // 0000000085EC: D89A1980 00006E14
	ds_write_b64 v20, v[114:115] offset:15232                  // 0000000085F4: D89A3B80 00007214
	ds_write_b64 v20, v[118:119] offset:23936                  // 0000000085FC: D89A5D80 00007614
	ds_write_b64 v20, v[122:123] offset:32640                  // 000000008604: D89A7F80 00007A14
	s_waitcnt lgkmcnt(0)                                       // 00000000860C: BF8CC07F
	s_barrier                                                  // 000000008610: BF8A0000
	ds_read_b32 v62, v21                                       // 000000008614: D86C0000 3E000015
	ds_read_b32 v63, v21 offset:64                             // 00000000861C: D86C0040 3F000015
	ds_read_b32 v66, v21 offset:2176                           // 000000008624: D86C0880 42000015
	ds_read_b32 v67, v21 offset:2240                           // 00000000862C: D86C08C0 43000015
	ds_read_b32 v70, v21 offset:4352                           // 000000008634: D86C1100 46000015
	ds_read_b32 v71, v21 offset:4416                           // 00000000863C: D86C1140 47000015
	ds_read_b32 v74, v21 offset:6528                           // 000000008644: D86C1980 4A000015
	ds_read_b32 v75, v21 offset:6592                           // 00000000864C: D86C19C0 4B000015
	ds_read_b32 v78, v21 offset:8704                           // 000000008654: D86C2200 4E000015
	ds_read_b32 v79, v21 offset:8768                           // 00000000865C: D86C2240 4F000015
	ds_read_b32 v82, v21 offset:10880                          // 000000008664: D86C2A80 52000015
	ds_read_b32 v83, v21 offset:10944                          // 00000000866C: D86C2AC0 53000015
	ds_read_b32 v86, v21 offset:13056                          // 000000008674: D86C3300 56000015
	ds_read_b32 v87, v21 offset:13120                          // 00000000867C: D86C3340 57000015
	ds_read_b32 v90, v21 offset:15232                          // 000000008684: D86C3B80 5A000015
	ds_read_b32 v91, v21 offset:15296                          // 00000000868C: D86C3BC0 5B000015
	ds_read_b32 v94, v21 offset:17408                          // 000000008694: D86C4400 5E000015
	ds_read_b32 v95, v21 offset:17472                          // 00000000869C: D86C4440 5F000015
	ds_read_b32 v98, v21 offset:19584                          // 0000000086A4: D86C4C80 62000015
	ds_read_b32 v99, v21 offset:19648                          // 0000000086AC: D86C4CC0 63000015
	ds_read_b32 v102, v21 offset:21760                         // 0000000086B4: D86C5500 66000015
	ds_read_b32 v103, v21 offset:21824                         // 0000000086BC: D86C5540 67000015
	ds_read_b32 v106, v21 offset:23936                         // 0000000086C4: D86C5D80 6A000015
	ds_read_b32 v107, v21 offset:24000                         // 0000000086CC: D86C5DC0 6B000015
	ds_read_b32 v110, v21 offset:26112                         // 0000000086D4: D86C6600 6E000015
	ds_read_b32 v111, v21 offset:26176                         // 0000000086DC: D86C6640 6F000015
	ds_read_b32 v114, v21 offset:28288                         // 0000000086E4: D86C6E80 72000015
	ds_read_b32 v115, v21 offset:28352                         // 0000000086EC: D86C6EC0 73000015
	ds_read_b32 v118, v21 offset:30464                         // 0000000086F4: D86C7700 76000015
	ds_read_b32 v119, v21 offset:30528                         // 0000000086FC: D86C7740 77000015
	ds_read_b32 v122, v21 offset:32640                         // 000000008704: D86C7F80 7A000015
	ds_read_b32 v123, v21 offset:32704                         // 00000000870C: D86C7FC0 7B000015
	s_waitcnt lgkmcnt(0)                                       // 000000008714: BF8CC07F
	v_mov_b32_e32 v7, 0                                        // 000000008718: 7E0E0280
	s_mov_b64 exec, s[36:37]                                   // 00000000871C: BEFE0124
	v_mov_b32_e32 v6, v46                                      // 000000008720: 7E0C032E
	s_mov_b64 s[60:61], 0                                      // 000000008724: BEBC0180
	v_readlane_b32 s82, v3, 0                                  // 000000008728: D2890052 00010103
	s_and_b32 s82, s82, 0xffffff                               // 000000008730: 8652FF52 00FFFFFF
	s_cmp_lt_u32 s82, s66                                      // 000000008738: BF0A4252
	s_cselect_b32 s20, s36, s60                                // 00000000873C: 85143C24
	v_readlane_b32 s82, v3, 1                                  // 000000008740: D2890052 00010303
	s_and_b32 s82, s82, 0xffffff                               // 000000008748: 8652FF52 00FFFFFF
	s_cmp_lt_u32 s82, s66                                      // 000000008750: BF0A4252
	s_cselect_b32 s21, s36, s60                                // 000000008754: 85153C24
	s_mov_b64 exec, s[20:21]                                   // 000000008758: BEFE0114
	global_atomic_add_f32 v6, v62, s[8:9] offset:8             // 00000000875C: DD348008 00083E06
	global_atomic_add_f32 v6, v66, s[8:9] offset:264           // 000000008764: DD348108 00084206
	global_atomic_add_f32 v6, v70, s[8:9] offset:520           // 00000000876C: DD348208 00084606
	global_atomic_add_f32 v6, v74, s[8:9] offset:776           // 000000008774: DD348308 00084A06
	s_mov_b64 exec, s[36:37]                                   // 00000000877C: BEFE0124
	v_mov_b32_e32 v6, v47                                      // 000000008780: 7E0C032F
	s_mov_b64 s[60:61], 0                                      // 000000008784: BEBC0180
	v_readlane_b32 s82, v3, 2                                  // 000000008788: D2890052 00010503
	s_and_b32 s82, s82, 0xffffff                               // 000000008790: 8652FF52 00FFFFFF
	s_cmp_lt_u32 s82, s66                                      // 000000008798: BF0A4252
	s_cselect_b32 s20, s36, s60                                // 00000000879C: 85143C24
	v_readlane_b32 s82, v3, 3                                  // 0000000087A0: D2890052 00010703
	s_and_b32 s82, s82, 0xffffff                               // 0000000087A8: 8652FF52 00FFFFFF
	s_cmp_lt_u32 s82, s66                                      // 0000000087B0: BF0A4252
	s_cselect_b32 s21, s36, s60                                // 0000000087B4: 85153C24
	s_mov_b64 exec, s[20:21]                                   // 0000000087B8: BEFE0114
	global_atomic_add_f32 v6, v63, s[8:9] offset:8             // 0000000087BC: DD348008 00083F06
	global_atomic_add_f32 v6, v67, s[8:9] offset:264           // 0000000087C4: DD348108 00084306
	global_atomic_add_f32 v6, v71, s[8:9] offset:520           // 0000000087CC: DD348208 00084706
	global_atomic_add_f32 v6, v75, s[8:9] offset:776           // 0000000087D4: DD348308 00084B06
	s_mov_b64 exec, s[36:37]                                   // 0000000087DC: BEFE0124
	v_mov_b32_e32 v6, v48                                      // 0000000087E0: 7E0C0330
	s_mov_b64 s[60:61], 0                                      // 0000000087E4: BEBC0180
	v_readlane_b32 s82, v3, 4                                  // 0000000087E8: D2890052 00010903
	s_and_b32 s82, s82, 0xffffff                               // 0000000087F0: 8652FF52 00FFFFFF
	s_cmp_lt_u32 s82, s66                                      // 0000000087F8: BF0A4252
	s_cselect_b32 s20, s36, s60                                // 0000000087FC: 85143C24
	v_readlane_b32 s82, v3, 5                                  // 000000008800: D2890052 00010B03
	s_and_b32 s82, s82, 0xffffff                               // 000000008808: 8652FF52 00FFFFFF
	s_cmp_lt_u32 s82, s66                                      // 000000008810: BF0A4252
	s_cselect_b32 s21, s36, s60                                // 000000008814: 85153C24
	s_mov_b64 exec, s[20:21]                                   // 000000008818: BEFE0114
	global_atomic_add_f32 v6, v78, s[8:9] offset:8             // 00000000881C: DD348008 00084E06
	global_atomic_add_f32 v6, v82, s[8:9] offset:264           // 000000008824: DD348108 00085206
	global_atomic_add_f32 v6, v86, s[8:9] offset:520           // 00000000882C: DD348208 00085606
	global_atomic_add_f32 v6, v90, s[8:9] offset:776           // 000000008834: DD348308 00085A06
	s_mov_b64 exec, s[36:37]                                   // 00000000883C: BEFE0124
	v_mov_b32_e32 v6, v49                                      // 000000008840: 7E0C0331
	s_mov_b64 s[60:61], 0                                      // 000000008844: BEBC0180
	v_readlane_b32 s82, v3, 6                                  // 000000008848: D2890052 00010D03
	s_and_b32 s82, s82, 0xffffff                               // 000000008850: 8652FF52 00FFFFFF
	s_cmp_lt_u32 s82, s66                                      // 000000008858: BF0A4252
	s_cselect_b32 s20, s36, s60                                // 00000000885C: 85143C24
	v_readlane_b32 s82, v3, 7                                  // 000000008860: D2890052 00010F03
	s_and_b32 s82, s82, 0xffffff                               // 000000008868: 8652FF52 00FFFFFF
	s_cmp_lt_u32 s82, s66                                      // 000000008870: BF0A4252
	s_cselect_b32 s21, s36, s60                                // 000000008874: 85153C24
	s_mov_b64 exec, s[20:21]                                   // 000000008878: BEFE0114
	global_atomic_add_f32 v6, v79, s[8:9] offset:8             // 00000000887C: DD348008 00084F06
	global_atomic_add_f32 v6, v83, s[8:9] offset:264           // 000000008884: DD348108 00085306
	global_atomic_add_f32 v6, v87, s[8:9] offset:520           // 00000000888C: DD348208 00085706
	global_atomic_add_f32 v6, v91, s[8:9] offset:776           // 000000008894: DD348308 00085B06
	s_mov_b64 exec, s[36:37]                                   // 00000000889C: BEFE0124
	v_mov_b32_e32 v6, v50                                      // 0000000088A0: 7E0C0332
	s_mov_b64 s[60:61], 0                                      // 0000000088A4: BEBC0180
	v_readlane_b32 s82, v3, 8                                  // 0000000088A8: D2890052 00011103
	s_and_b32 s82, s82, 0xffffff                               // 0000000088B0: 8652FF52 00FFFFFF
	s_cmp_lt_u32 s82, s66                                      // 0000000088B8: BF0A4252
	s_cselect_b32 s20, s36, s60                                // 0000000088BC: 85143C24
	v_readlane_b32 s82, v3, 9                                  // 0000000088C0: D2890052 00011303
	s_and_b32 s82, s82, 0xffffff                               // 0000000088C8: 8652FF52 00FFFFFF
	s_cmp_lt_u32 s82, s66                                      // 0000000088D0: BF0A4252
	s_cselect_b32 s21, s36, s60                                // 0000000088D4: 85153C24
	s_mov_b64 exec, s[20:21]                                   // 0000000088D8: BEFE0114
	global_atomic_add_f32 v6, v94, s[8:9] offset:8             // 0000000088DC: DD348008 00085E06
	global_atomic_add_f32 v6, v98, s[8:9] offset:264           // 0000000088E4: DD348108 00086206
	global_atomic_add_f32 v6, v102, s[8:9] offset:520          // 0000000088EC: DD348208 00086606
	global_atomic_add_f32 v6, v106, s[8:9] offset:776          // 0000000088F4: DD348308 00086A06
	s_mov_b64 exec, s[36:37]                                   // 0000000088FC: BEFE0124
	v_mov_b32_e32 v6, v51                                      // 000000008900: 7E0C0333
	s_mov_b64 s[60:61], 0                                      // 000000008904: BEBC0180
	v_readlane_b32 s82, v3, 10                                 // 000000008908: D2890052 00011503
	s_and_b32 s82, s82, 0xffffff                               // 000000008910: 8652FF52 00FFFFFF
	s_cmp_lt_u32 s82, s66                                      // 000000008918: BF0A4252
	s_cselect_b32 s20, s36, s60                                // 00000000891C: 85143C24
	v_readlane_b32 s82, v3, 11                                 // 000000008920: D2890052 00011703
	s_and_b32 s82, s82, 0xffffff                               // 000000008928: 8652FF52 00FFFFFF
	s_cmp_lt_u32 s82, s66                                      // 000000008930: BF0A4252
	s_cselect_b32 s21, s36, s60                                // 000000008934: 85153C24
	s_mov_b64 exec, s[20:21]                                   // 000000008938: BEFE0114
	global_atomic_add_f32 v6, v95, s[8:9] offset:8             // 00000000893C: DD348008 00085F06
	global_atomic_add_f32 v6, v99, s[8:9] offset:264           // 000000008944: DD348108 00086306
	global_atomic_add_f32 v6, v103, s[8:9] offset:520          // 00000000894C: DD348208 00086706
	global_atomic_add_f32 v6, v107, s[8:9] offset:776          // 000000008954: DD348308 00086B06
	s_mov_b64 exec, s[36:37]                                   // 00000000895C: BEFE0124
	v_mov_b32_e32 v6, v52                                      // 000000008960: 7E0C0334
	s_mov_b64 s[60:61], 0                                      // 000000008964: BEBC0180
	v_readlane_b32 s82, v3, 12                                 // 000000008968: D2890052 00011903
	s_and_b32 s82, s82, 0xffffff                               // 000000008970: 8652FF52 00FFFFFF
	s_cmp_lt_u32 s82, s66                                      // 000000008978: BF0A4252
	s_cselect_b32 s20, s36, s60                                // 00000000897C: 85143C24
	v_readlane_b32 s82, v3, 13                                 // 000000008980: D2890052 00011B03
	s_and_b32 s82, s82, 0xffffff                               // 000000008988: 8652FF52 00FFFFFF
	s_cmp_lt_u32 s82, s66                                      // 000000008990: BF0A4252
	s_cselect_b32 s21, s36, s60                                // 000000008994: 85153C24
	s_mov_b64 exec, s[20:21]                                   // 000000008998: BEFE0114
	global_atomic_add_f32 v6, v110, s[8:9] offset:8            // 00000000899C: DD348008 00086E06
	global_atomic_add_f32 v6, v114, s[8:9] offset:264          // 0000000089A4: DD348108 00087206
	global_atomic_add_f32 v6, v118, s[8:9] offset:520          // 0000000089AC: DD348208 00087606
	global_atomic_add_f32 v6, v122, s[8:9] offset:776          // 0000000089B4: DD348308 00087A06
	s_mov_b64 exec, s[36:37]                                   // 0000000089BC: BEFE0124
	v_mov_b32_e32 v6, v53                                      // 0000000089C0: 7E0C0335
	s_mov_b64 s[60:61], 0                                      // 0000000089C4: BEBC0180
	v_readlane_b32 s82, v3, 14                                 // 0000000089C8: D2890052 00011D03
	s_and_b32 s82, s82, 0xffffff                               // 0000000089D0: 8652FF52 00FFFFFF
	s_cmp_lt_u32 s82, s66                                      // 0000000089D8: BF0A4252
	s_cselect_b32 s20, s36, s60                                // 0000000089DC: 85143C24
	v_readlane_b32 s82, v3, 15                                 // 0000000089E0: D2890052 00011F03
	s_and_b32 s82, s82, 0xffffff                               // 0000000089E8: 8652FF52 00FFFFFF
	s_cmp_lt_u32 s82, s66                                      // 0000000089F0: BF0A4252
	s_cselect_b32 s21, s36, s60                                // 0000000089F4: 85153C24
	s_mov_b64 exec, s[20:21]                                   // 0000000089F8: BEFE0114
	global_atomic_add_f32 v6, v111, s[8:9] offset:8            // 0000000089FC: DD348008 00086F06
	global_atomic_add_f32 v6, v115, s[8:9] offset:264          // 000000008A04: DD348108 00087306
	global_atomic_add_f32 v6, v119, s[8:9] offset:520          // 000000008A0C: DD348208 00087706
	global_atomic_add_f32 v6, v123, s[8:9] offset:776          // 000000008A14: DD348308 00087B06
	s_mov_b64 exec, s[36:37]                                   // 000000008A1C: BEFE0124
	ds_write_b64 v20, v[124:125]                               // 000000008A20: D89A0000 00007C14
	ds_write_b64 v20, v[128:129] offset:8704                   // 000000008A28: D89A2200 00008014
	ds_write_b64 v20, v[132:133] offset:17408                  // 000000008A30: D89A4400 00008414
	ds_write_b64 v20, v[136:137] offset:26112                  // 000000008A38: D89A6600 00008814
	ds_write_b64 v20, v[140:141] offset:2176                   // 000000008A40: D89A0880 00008C14
	ds_write_b64 v20, v[144:145] offset:10880                  // 000000008A48: D89A2A80 00009014
	ds_write_b64 v20, v[148:149] offset:19584                  // 000000008A50: D89A4C80 00009414
	ds_write_b64 v20, v[152:153] offset:28288                  // 000000008A58: D89A6E80 00009814
	ds_write_b64 v20, v[156:157] offset:4352                   // 000000008A60: D89A1100 00009C14
	ds_write_b64 v20, v[160:161] offset:13056                  // 000000008A68: D89A3300 0000A014
	ds_write_b64 v20, v[164:165] offset:21760                  // 000000008A70: D89A5500 0000A414
	ds_write_b64 v20, v[168:169] offset:30464                  // 000000008A78: D89A7700 0000A814
	ds_write_b64 v20, v[172:173] offset:6528                   // 000000008A80: D89A1980 0000AC14
	ds_write_b64 v20, v[176:177] offset:15232                  // 000000008A88: D89A3B80 0000B014
	ds_write_b64 v20, v[180:181] offset:23936                  // 000000008A90: D89A5D80 0000B414
	ds_write_b64 v20, v[184:185] offset:32640                  // 000000008A98: D89A7F80 0000B814
	s_waitcnt lgkmcnt(0)                                       // 000000008AA0: BF8CC07F
	s_barrier                                                  // 000000008AA4: BF8A0000
	ds_read_b32 v124, v21                                      // 000000008AA8: D86C0000 7C000015
	ds_read_b32 v125, v21 offset:64                            // 000000008AB0: D86C0040 7D000015
	ds_read_b32 v128, v21 offset:2176                          // 000000008AB8: D86C0880 80000015
	ds_read_b32 v129, v21 offset:2240                          // 000000008AC0: D86C08C0 81000015
	ds_read_b32 v132, v21 offset:4352                          // 000000008AC8: D86C1100 84000015
	ds_read_b32 v133, v21 offset:4416                          // 000000008AD0: D86C1140 85000015
	ds_read_b32 v136, v21 offset:6528                          // 000000008AD8: D86C1980 88000015
	ds_read_b32 v137, v21 offset:6592                          // 000000008AE0: D86C19C0 89000015
	ds_read_b32 v140, v21 offset:8704                          // 000000008AE8: D86C2200 8C000015
	ds_read_b32 v141, v21 offset:8768                          // 000000008AF0: D86C2240 8D000015
	ds_read_b32 v144, v21 offset:10880                         // 000000008AF8: D86C2A80 90000015
	ds_read_b32 v145, v21 offset:10944                         // 000000008B00: D86C2AC0 91000015
	ds_read_b32 v148, v21 offset:13056                         // 000000008B08: D86C3300 94000015
	ds_read_b32 v149, v21 offset:13120                         // 000000008B10: D86C3340 95000015
	ds_read_b32 v152, v21 offset:15232                         // 000000008B18: D86C3B80 98000015
	ds_read_b32 v153, v21 offset:15296                         // 000000008B20: D86C3BC0 99000015
	ds_read_b32 v156, v21 offset:17408                         // 000000008B28: D86C4400 9C000015
	ds_read_b32 v157, v21 offset:17472                         // 000000008B30: D86C4440 9D000015
	ds_read_b32 v160, v21 offset:19584                         // 000000008B38: D86C4C80 A0000015
	ds_read_b32 v161, v21 offset:19648                         // 000000008B40: D86C4CC0 A1000015
	ds_read_b32 v164, v21 offset:21760                         // 000000008B48: D86C5500 A4000015
	ds_read_b32 v165, v21 offset:21824                         // 000000008B50: D86C5540 A5000015
	ds_read_b32 v168, v21 offset:23936                         // 000000008B58: D86C5D80 A8000015
	ds_read_b32 v169, v21 offset:24000                         // 000000008B60: D86C5DC0 A9000015
	ds_read_b32 v172, v21 offset:26112                         // 000000008B68: D86C6600 AC000015
	ds_read_b32 v173, v21 offset:26176                         // 000000008B70: D86C6640 AD000015
	ds_read_b32 v176, v21 offset:28288                         // 000000008B78: D86C6E80 B0000015
	ds_read_b32 v177, v21 offset:28352                         // 000000008B80: D86C6EC0 B1000015
	ds_read_b32 v180, v21 offset:30464                         // 000000008B88: D86C7700 B4000015
	ds_read_b32 v181, v21 offset:30528                         // 000000008B90: D86C7740 B5000015
	ds_read_b32 v184, v21 offset:32640                         // 000000008B98: D86C7F80 B8000015
	ds_read_b32 v185, v21 offset:32704                         // 000000008BA0: D86C7FC0 B9000015
	s_mul_i32 s60, s65, 4                                      // 000000008BA8: 923C8441
	s_add_u32 s8, s60, s8                                      // 000000008BAC: 8008083C
	s_addc_u32 s9, 0, s9                                       // 000000008BB0: 82090980
	s_waitcnt lgkmcnt(0)                                       // 000000008BB4: BF8CC07F
	v_mov_b32_e32 v7, 0                                        // 000000008BB8: 7E0E0280
	s_mov_b64 exec, s[36:37]                                   // 000000008BBC: BEFE0124
	v_mov_b32_e32 v6, v46                                      // 000000008BC0: 7E0C032E
	s_mov_b64 s[60:61], 0                                      // 000000008BC4: BEBC0180
	v_readlane_b32 s82, v3, 0                                  // 000000008BC8: D2890052 00010103
	s_and_b32 s82, s82, 0xffffff                               // 000000008BD0: 8652FF52 00FFFFFF
	s_cmp_lt_u32 s82, s66                                      // 000000008BD8: BF0A4252
	s_cselect_b32 s20, s36, s60                                // 000000008BDC: 85143C24
	v_readlane_b32 s82, v3, 1                                  // 000000008BE0: D2890052 00010303
	s_and_b32 s82, s82, 0xffffff                               // 000000008BE8: 8652FF52 00FFFFFF
	s_cmp_lt_u32 s82, s66                                      // 000000008BF0: BF0A4252
	s_cselect_b32 s21, s36, s60                                // 000000008BF4: 85153C24
	s_mov_b64 exec, s[20:21]                                   // 000000008BF8: BEFE0114
	global_atomic_add_f32 v6, v124, s[8:9]                     // 000000008BFC: DD348000 00087C06
	global_atomic_add_f32 v6, v128, s[8:9] offset:256          // 000000008C04: DD348100 00088006
	global_atomic_add_f32 v6, v132, s[8:9] offset:512          // 000000008C0C: DD348200 00088406
	global_atomic_add_f32 v6, v136, s[8:9] offset:768          // 000000008C14: DD348300 00088806
	s_mov_b64 exec, s[36:37]                                   // 000000008C1C: BEFE0124
	v_mov_b32_e32 v6, v47                                      // 000000008C20: 7E0C032F
	s_mov_b64 s[60:61], 0                                      // 000000008C24: BEBC0180
	v_readlane_b32 s82, v3, 2                                  // 000000008C28: D2890052 00010503
	s_and_b32 s82, s82, 0xffffff                               // 000000008C30: 8652FF52 00FFFFFF
	s_cmp_lt_u32 s82, s66                                      // 000000008C38: BF0A4252
	s_cselect_b32 s20, s36, s60                                // 000000008C3C: 85143C24
	v_readlane_b32 s82, v3, 3                                  // 000000008C40: D2890052 00010703
	s_and_b32 s82, s82, 0xffffff                               // 000000008C48: 8652FF52 00FFFFFF
	s_cmp_lt_u32 s82, s66                                      // 000000008C50: BF0A4252
	s_cselect_b32 s21, s36, s60                                // 000000008C54: 85153C24
	s_mov_b64 exec, s[20:21]                                   // 000000008C58: BEFE0114
	global_atomic_add_f32 v6, v125, s[8:9]                     // 000000008C5C: DD348000 00087D06
	global_atomic_add_f32 v6, v129, s[8:9] offset:256          // 000000008C64: DD348100 00088106
	global_atomic_add_f32 v6, v133, s[8:9] offset:512          // 000000008C6C: DD348200 00088506
	global_atomic_add_f32 v6, v137, s[8:9] offset:768          // 000000008C74: DD348300 00088906
	s_mov_b64 exec, s[36:37]                                   // 000000008C7C: BEFE0124
	v_mov_b32_e32 v6, v48                                      // 000000008C80: 7E0C0330
	s_mov_b64 s[60:61], 0                                      // 000000008C84: BEBC0180
	v_readlane_b32 s82, v3, 4                                  // 000000008C88: D2890052 00010903
	s_and_b32 s82, s82, 0xffffff                               // 000000008C90: 8652FF52 00FFFFFF
	s_cmp_lt_u32 s82, s66                                      // 000000008C98: BF0A4252
	s_cselect_b32 s20, s36, s60                                // 000000008C9C: 85143C24
	v_readlane_b32 s82, v3, 5                                  // 000000008CA0: D2890052 00010B03
	s_and_b32 s82, s82, 0xffffff                               // 000000008CA8: 8652FF52 00FFFFFF
	s_cmp_lt_u32 s82, s66                                      // 000000008CB0: BF0A4252
	s_cselect_b32 s21, s36, s60                                // 000000008CB4: 85153C24
	s_mov_b64 exec, s[20:21]                                   // 000000008CB8: BEFE0114
	global_atomic_add_f32 v6, v140, s[8:9]                     // 000000008CBC: DD348000 00088C06
	global_atomic_add_f32 v6, v144, s[8:9] offset:256          // 000000008CC4: DD348100 00089006
	global_atomic_add_f32 v6, v148, s[8:9] offset:512          // 000000008CCC: DD348200 00089406
	global_atomic_add_f32 v6, v152, s[8:9] offset:768          // 000000008CD4: DD348300 00089806
	s_mov_b64 exec, s[36:37]                                   // 000000008CDC: BEFE0124
	v_mov_b32_e32 v6, v49                                      // 000000008CE0: 7E0C0331
	s_mov_b64 s[60:61], 0                                      // 000000008CE4: BEBC0180
	v_readlane_b32 s82, v3, 6                                  // 000000008CE8: D2890052 00010D03
	s_and_b32 s82, s82, 0xffffff                               // 000000008CF0: 8652FF52 00FFFFFF
	s_cmp_lt_u32 s82, s66                                      // 000000008CF8: BF0A4252
	s_cselect_b32 s20, s36, s60                                // 000000008CFC: 85143C24
	v_readlane_b32 s82, v3, 7                                  // 000000008D00: D2890052 00010F03
	s_and_b32 s82, s82, 0xffffff                               // 000000008D08: 8652FF52 00FFFFFF
	s_cmp_lt_u32 s82, s66                                      // 000000008D10: BF0A4252
	s_cselect_b32 s21, s36, s60                                // 000000008D14: 85153C24
	s_mov_b64 exec, s[20:21]                                   // 000000008D18: BEFE0114
	global_atomic_add_f32 v6, v141, s[8:9]                     // 000000008D1C: DD348000 00088D06
	global_atomic_add_f32 v6, v145, s[8:9] offset:256          // 000000008D24: DD348100 00089106
	global_atomic_add_f32 v6, v149, s[8:9] offset:512          // 000000008D2C: DD348200 00089506
	global_atomic_add_f32 v6, v153, s[8:9] offset:768          // 000000008D34: DD348300 00089906
	s_mov_b64 exec, s[36:37]                                   // 000000008D3C: BEFE0124
	v_mov_b32_e32 v6, v50                                      // 000000008D40: 7E0C0332
	s_mov_b64 s[60:61], 0                                      // 000000008D44: BEBC0180
	v_readlane_b32 s82, v3, 8                                  // 000000008D48: D2890052 00011103
	s_and_b32 s82, s82, 0xffffff                               // 000000008D50: 8652FF52 00FFFFFF
	s_cmp_lt_u32 s82, s66                                      // 000000008D58: BF0A4252
	s_cselect_b32 s20, s36, s60                                // 000000008D5C: 85143C24
	v_readlane_b32 s82, v3, 9                                  // 000000008D60: D2890052 00011303
	s_and_b32 s82, s82, 0xffffff                               // 000000008D68: 8652FF52 00FFFFFF
	s_cmp_lt_u32 s82, s66                                      // 000000008D70: BF0A4252
	s_cselect_b32 s21, s36, s60                                // 000000008D74: 85153C24
	s_mov_b64 exec, s[20:21]                                   // 000000008D78: BEFE0114
	global_atomic_add_f32 v6, v156, s[8:9]                     // 000000008D7C: DD348000 00089C06
	global_atomic_add_f32 v6, v160, s[8:9] offset:256          // 000000008D84: DD348100 0008A006
	global_atomic_add_f32 v6, v164, s[8:9] offset:512          // 000000008D8C: DD348200 0008A406
	global_atomic_add_f32 v6, v168, s[8:9] offset:768          // 000000008D94: DD348300 0008A806
	s_mov_b64 exec, s[36:37]                                   // 000000008D9C: BEFE0124
	v_mov_b32_e32 v6, v51                                      // 000000008DA0: 7E0C0333
	s_mov_b64 s[60:61], 0                                      // 000000008DA4: BEBC0180
	v_readlane_b32 s82, v3, 10                                 // 000000008DA8: D2890052 00011503
	s_and_b32 s82, s82, 0xffffff                               // 000000008DB0: 8652FF52 00FFFFFF
	s_cmp_lt_u32 s82, s66                                      // 000000008DB8: BF0A4252
	s_cselect_b32 s20, s36, s60                                // 000000008DBC: 85143C24
	v_readlane_b32 s82, v3, 11                                 // 000000008DC0: D2890052 00011703
	s_and_b32 s82, s82, 0xffffff                               // 000000008DC8: 8652FF52 00FFFFFF
	s_cmp_lt_u32 s82, s66                                      // 000000008DD0: BF0A4252
	s_cselect_b32 s21, s36, s60                                // 000000008DD4: 85153C24
	s_mov_b64 exec, s[20:21]                                   // 000000008DD8: BEFE0114
	global_atomic_add_f32 v6, v157, s[8:9]                     // 000000008DDC: DD348000 00089D06
	global_atomic_add_f32 v6, v161, s[8:9] offset:256          // 000000008DE4: DD348100 0008A106
	global_atomic_add_f32 v6, v165, s[8:9] offset:512          // 000000008DEC: DD348200 0008A506
	global_atomic_add_f32 v6, v169, s[8:9] offset:768          // 000000008DF4: DD348300 0008A906
	s_mov_b64 exec, s[36:37]                                   // 000000008DFC: BEFE0124
	v_mov_b32_e32 v6, v52                                      // 000000008E00: 7E0C0334
	s_mov_b64 s[60:61], 0                                      // 000000008E04: BEBC0180
	v_readlane_b32 s82, v3, 12                                 // 000000008E08: D2890052 00011903
	s_and_b32 s82, s82, 0xffffff                               // 000000008E10: 8652FF52 00FFFFFF
	s_cmp_lt_u32 s82, s66                                      // 000000008E18: BF0A4252
	s_cselect_b32 s20, s36, s60                                // 000000008E1C: 85143C24
	v_readlane_b32 s82, v3, 13                                 // 000000008E20: D2890052 00011B03
	s_and_b32 s82, s82, 0xffffff                               // 000000008E28: 8652FF52 00FFFFFF
	s_cmp_lt_u32 s82, s66                                      // 000000008E30: BF0A4252
	s_cselect_b32 s21, s36, s60                                // 000000008E34: 85153C24
	s_mov_b64 exec, s[20:21]                                   // 000000008E38: BEFE0114
	global_atomic_add_f32 v6, v172, s[8:9]                     // 000000008E3C: DD348000 0008AC06
	global_atomic_add_f32 v6, v176, s[8:9] offset:256          // 000000008E44: DD348100 0008B006
	global_atomic_add_f32 v6, v180, s[8:9] offset:512          // 000000008E4C: DD348200 0008B406
	global_atomic_add_f32 v6, v184, s[8:9] offset:768          // 000000008E54: DD348300 0008B806
	s_mov_b64 exec, s[36:37]                                   // 000000008E5C: BEFE0124
	v_mov_b32_e32 v6, v53                                      // 000000008E60: 7E0C0335
	s_mov_b64 s[60:61], 0                                      // 000000008E64: BEBC0180
	v_readlane_b32 s82, v3, 14                                 // 000000008E68: D2890052 00011D03
	s_and_b32 s82, s82, 0xffffff                               // 000000008E70: 8652FF52 00FFFFFF
	s_cmp_lt_u32 s82, s66                                      // 000000008E78: BF0A4252
	s_cselect_b32 s20, s36, s60                                // 000000008E7C: 85143C24
	v_readlane_b32 s82, v3, 15                                 // 000000008E80: D2890052 00011F03
	s_and_b32 s82, s82, 0xffffff                               // 000000008E88: 8652FF52 00FFFFFF
	s_cmp_lt_u32 s82, s66                                      // 000000008E90: BF0A4252
	s_cselect_b32 s21, s36, s60                                // 000000008E94: 85153C24
	s_mov_b64 exec, s[20:21]                                   // 000000008E98: BEFE0114
	global_atomic_add_f32 v6, v173, s[8:9]                     // 000000008E9C: DD348000 0008AD06
	global_atomic_add_f32 v6, v177, s[8:9] offset:256          // 000000008EA4: DD348100 0008B106
	global_atomic_add_f32 v6, v181, s[8:9] offset:512          // 000000008EAC: DD348200 0008B506
	global_atomic_add_f32 v6, v185, s[8:9] offset:768          // 000000008EB4: DD348300 0008B906
	s_mov_b64 exec, s[36:37]                                   // 000000008EBC: BEFE0124
	ds_write_b64 v20, v[126:127]                               // 000000008EC0: D89A0000 00007E14
	ds_write_b64 v20, v[130:131] offset:8704                   // 000000008EC8: D89A2200 00008214
	ds_write_b64 v20, v[134:135] offset:17408                  // 000000008ED0: D89A4400 00008614
	ds_write_b64 v20, v[138:139] offset:26112                  // 000000008ED8: D89A6600 00008A14
	ds_write_b64 v20, v[142:143] offset:2176                   // 000000008EE0: D89A0880 00008E14
	ds_write_b64 v20, v[146:147] offset:10880                  // 000000008EE8: D89A2A80 00009214
	ds_write_b64 v20, v[150:151] offset:19584                  // 000000008EF0: D89A4C80 00009614
	ds_write_b64 v20, v[154:155] offset:28288                  // 000000008EF8: D89A6E80 00009A14
	ds_write_b64 v20, v[158:159] offset:4352                   // 000000008F00: D89A1100 00009E14
	ds_write_b64 v20, v[162:163] offset:13056                  // 000000008F08: D89A3300 0000A214
	ds_write_b64 v20, v[166:167] offset:21760                  // 000000008F10: D89A5500 0000A614
	ds_write_b64 v20, v[170:171] offset:30464                  // 000000008F18: D89A7700 0000AA14
	ds_write_b64 v20, v[174:175] offset:6528                   // 000000008F20: D89A1980 0000AE14
	ds_write_b64 v20, v[178:179] offset:15232                  // 000000008F28: D89A3B80 0000B214
	ds_write_b64 v20, v[182:183] offset:23936                  // 000000008F30: D89A5D80 0000B614
	ds_write_b64 v20, v[186:187] offset:32640                  // 000000008F38: D89A7F80 0000BA14
	s_waitcnt lgkmcnt(0)                                       // 000000008F40: BF8CC07F
	s_barrier                                                  // 000000008F44: BF8A0000
	ds_read_b32 v126, v21                                      // 000000008F48: D86C0000 7E000015
	ds_read_b32 v127, v21 offset:64                            // 000000008F50: D86C0040 7F000015
	ds_read_b32 v130, v21 offset:2176                          // 000000008F58: D86C0880 82000015
	ds_read_b32 v131, v21 offset:2240                          // 000000008F60: D86C08C0 83000015
	ds_read_b32 v134, v21 offset:4352                          // 000000008F68: D86C1100 86000015
	ds_read_b32 v135, v21 offset:4416                          // 000000008F70: D86C1140 87000015
	ds_read_b32 v138, v21 offset:6528                          // 000000008F78: D86C1980 8A000015
	ds_read_b32 v139, v21 offset:6592                          // 000000008F80: D86C19C0 8B000015
	ds_read_b32 v142, v21 offset:8704                          // 000000008F88: D86C2200 8E000015
	ds_read_b32 v143, v21 offset:8768                          // 000000008F90: D86C2240 8F000015
	ds_read_b32 v146, v21 offset:10880                         // 000000008F98: D86C2A80 92000015
	ds_read_b32 v147, v21 offset:10944                         // 000000008FA0: D86C2AC0 93000015
	ds_read_b32 v150, v21 offset:13056                         // 000000008FA8: D86C3300 96000015
	ds_read_b32 v151, v21 offset:13120                         // 000000008FB0: D86C3340 97000015
	ds_read_b32 v154, v21 offset:15232                         // 000000008FB8: D86C3B80 9A000015
	ds_read_b32 v155, v21 offset:15296                         // 000000008FC0: D86C3BC0 9B000015
	ds_read_b32 v158, v21 offset:17408                         // 000000008FC8: D86C4400 9E000015
	ds_read_b32 v159, v21 offset:17472                         // 000000008FD0: D86C4440 9F000015
	ds_read_b32 v162, v21 offset:19584                         // 000000008FD8: D86C4C80 A2000015
	ds_read_b32 v163, v21 offset:19648                         // 000000008FE0: D86C4CC0 A3000015
	ds_read_b32 v166, v21 offset:21760                         // 000000008FE8: D86C5500 A6000015
	ds_read_b32 v167, v21 offset:21824                         // 000000008FF0: D86C5540 A7000015
	ds_read_b32 v170, v21 offset:23936                         // 000000008FF8: D86C5D80 AA000015
	ds_read_b32 v171, v21 offset:24000                         // 000000009000: D86C5DC0 AB000015
	ds_read_b32 v174, v21 offset:26112                         // 000000009008: D86C6600 AE000015
	ds_read_b32 v175, v21 offset:26176                         // 000000009010: D86C6640 AF000015
	ds_read_b32 v178, v21 offset:28288                         // 000000009018: D86C6E80 B2000015
	ds_read_b32 v179, v21 offset:28352                         // 000000009020: D86C6EC0 B3000015
	ds_read_b32 v182, v21 offset:30464                         // 000000009028: D86C7700 B6000015
	ds_read_b32 v183, v21 offset:30528                         // 000000009030: D86C7740 B7000015
	ds_read_b32 v186, v21 offset:32640                         // 000000009038: D86C7F80 BA000015
	ds_read_b32 v187, v21 offset:32704                         // 000000009040: D86C7FC0 BB000015
	s_waitcnt lgkmcnt(0)                                       // 000000009048: BF8CC07F
	v_mov_b32_e32 v7, 0                                        // 00000000904C: 7E0E0280
	s_mov_b64 exec, s[36:37]                                   // 000000009050: BEFE0124
	v_mov_b32_e32 v6, v46                                      // 000000009054: 7E0C032E
	s_mov_b64 s[60:61], 0                                      // 000000009058: BEBC0180
	v_readlane_b32 s82, v3, 0                                  // 00000000905C: D2890052 00010103
	s_and_b32 s82, s82, 0xffffff                               // 000000009064: 8652FF52 00FFFFFF
	s_cmp_lt_u32 s82, s66                                      // 00000000906C: BF0A4252
	s_cselect_b32 s20, s36, s60                                // 000000009070: 85143C24
	v_readlane_b32 s82, v3, 1                                  // 000000009074: D2890052 00010303
	s_and_b32 s82, s82, 0xffffff                               // 00000000907C: 8652FF52 00FFFFFF
	s_cmp_lt_u32 s82, s66                                      // 000000009084: BF0A4252
	s_cselect_b32 s21, s36, s60                                // 000000009088: 85153C24
	s_mov_b64 exec, s[20:21]                                   // 00000000908C: BEFE0114
	global_atomic_add_f32 v6, v126, s[8:9] offset:8            // 000000009090: DD348008 00087E06
	global_atomic_add_f32 v6, v130, s[8:9] offset:264          // 000000009098: DD348108 00088206
	global_atomic_add_f32 v6, v134, s[8:9] offset:520          // 0000000090A0: DD348208 00088606
	global_atomic_add_f32 v6, v138, s[8:9] offset:776          // 0000000090A8: DD348308 00088A06
	s_mov_b64 exec, s[36:37]                                   // 0000000090B0: BEFE0124
	v_mov_b32_e32 v6, v47                                      // 0000000090B4: 7E0C032F
	s_mov_b64 s[60:61], 0                                      // 0000000090B8: BEBC0180
	v_readlane_b32 s82, v3, 2                                  // 0000000090BC: D2890052 00010503
	s_and_b32 s82, s82, 0xffffff                               // 0000000090C4: 8652FF52 00FFFFFF
	s_cmp_lt_u32 s82, s66                                      // 0000000090CC: BF0A4252
	s_cselect_b32 s20, s36, s60                                // 0000000090D0: 85143C24
	v_readlane_b32 s82, v3, 3                                  // 0000000090D4: D2890052 00010703
	s_and_b32 s82, s82, 0xffffff                               // 0000000090DC: 8652FF52 00FFFFFF
	s_cmp_lt_u32 s82, s66                                      // 0000000090E4: BF0A4252
	s_cselect_b32 s21, s36, s60                                // 0000000090E8: 85153C24
	s_mov_b64 exec, s[20:21]                                   // 0000000090EC: BEFE0114
	global_atomic_add_f32 v6, v127, s[8:9] offset:8            // 0000000090F0: DD348008 00087F06
	global_atomic_add_f32 v6, v131, s[8:9] offset:264          // 0000000090F8: DD348108 00088306
	global_atomic_add_f32 v6, v135, s[8:9] offset:520          // 000000009100: DD348208 00088706
	global_atomic_add_f32 v6, v139, s[8:9] offset:776          // 000000009108: DD348308 00088B06
	s_mov_b64 exec, s[36:37]                                   // 000000009110: BEFE0124
	v_mov_b32_e32 v6, v48                                      // 000000009114: 7E0C0330
	s_mov_b64 s[60:61], 0                                      // 000000009118: BEBC0180
	v_readlane_b32 s82, v3, 4                                  // 00000000911C: D2890052 00010903
	s_and_b32 s82, s82, 0xffffff                               // 000000009124: 8652FF52 00FFFFFF
	s_cmp_lt_u32 s82, s66                                      // 00000000912C: BF0A4252
	s_cselect_b32 s20, s36, s60                                // 000000009130: 85143C24
	v_readlane_b32 s82, v3, 5                                  // 000000009134: D2890052 00010B03
	s_and_b32 s82, s82, 0xffffff                               // 00000000913C: 8652FF52 00FFFFFF
	s_cmp_lt_u32 s82, s66                                      // 000000009144: BF0A4252
	s_cselect_b32 s21, s36, s60                                // 000000009148: 85153C24
	s_mov_b64 exec, s[20:21]                                   // 00000000914C: BEFE0114
	global_atomic_add_f32 v6, v142, s[8:9] offset:8            // 000000009150: DD348008 00088E06
	global_atomic_add_f32 v6, v146, s[8:9] offset:264          // 000000009158: DD348108 00089206
	global_atomic_add_f32 v6, v150, s[8:9] offset:520          // 000000009160: DD348208 00089606
	global_atomic_add_f32 v6, v154, s[8:9] offset:776          // 000000009168: DD348308 00089A06
	s_mov_b64 exec, s[36:37]                                   // 000000009170: BEFE0124
	v_mov_b32_e32 v6, v49                                      // 000000009174: 7E0C0331
	s_mov_b64 s[60:61], 0                                      // 000000009178: BEBC0180
	v_readlane_b32 s82, v3, 6                                  // 00000000917C: D2890052 00010D03
	s_and_b32 s82, s82, 0xffffff                               // 000000009184: 8652FF52 00FFFFFF
	s_cmp_lt_u32 s82, s66                                      // 00000000918C: BF0A4252
	s_cselect_b32 s20, s36, s60                                // 000000009190: 85143C24
	v_readlane_b32 s82, v3, 7                                  // 000000009194: D2890052 00010F03
	s_and_b32 s82, s82, 0xffffff                               // 00000000919C: 8652FF52 00FFFFFF
	s_cmp_lt_u32 s82, s66                                      // 0000000091A4: BF0A4252
	s_cselect_b32 s21, s36, s60                                // 0000000091A8: 85153C24
	s_mov_b64 exec, s[20:21]                                   // 0000000091AC: BEFE0114
	global_atomic_add_f32 v6, v143, s[8:9] offset:8            // 0000000091B0: DD348008 00088F06
	global_atomic_add_f32 v6, v147, s[8:9] offset:264          // 0000000091B8: DD348108 00089306
	global_atomic_add_f32 v6, v151, s[8:9] offset:520          // 0000000091C0: DD348208 00089706
	global_atomic_add_f32 v6, v155, s[8:9] offset:776          // 0000000091C8: DD348308 00089B06
	s_mov_b64 exec, s[36:37]                                   // 0000000091D0: BEFE0124
	v_mov_b32_e32 v6, v50                                      // 0000000091D4: 7E0C0332
	s_mov_b64 s[60:61], 0                                      // 0000000091D8: BEBC0180
	v_readlane_b32 s82, v3, 8                                  // 0000000091DC: D2890052 00011103
	s_and_b32 s82, s82, 0xffffff                               // 0000000091E4: 8652FF52 00FFFFFF
	s_cmp_lt_u32 s82, s66                                      // 0000000091EC: BF0A4252
	s_cselect_b32 s20, s36, s60                                // 0000000091F0: 85143C24
	v_readlane_b32 s82, v3, 9                                  // 0000000091F4: D2890052 00011303
	s_and_b32 s82, s82, 0xffffff                               // 0000000091FC: 8652FF52 00FFFFFF
	s_cmp_lt_u32 s82, s66                                      // 000000009204: BF0A4252
	s_cselect_b32 s21, s36, s60                                // 000000009208: 85153C24
	s_mov_b64 exec, s[20:21]                                   // 00000000920C: BEFE0114
	global_atomic_add_f32 v6, v158, s[8:9] offset:8            // 000000009210: DD348008 00089E06
	global_atomic_add_f32 v6, v162, s[8:9] offset:264          // 000000009218: DD348108 0008A206
	global_atomic_add_f32 v6, v166, s[8:9] offset:520          // 000000009220: DD348208 0008A606
	global_atomic_add_f32 v6, v170, s[8:9] offset:776          // 000000009228: DD348308 0008AA06
	s_mov_b64 exec, s[36:37]                                   // 000000009230: BEFE0124
	v_mov_b32_e32 v6, v51                                      // 000000009234: 7E0C0333
	s_mov_b64 s[60:61], 0                                      // 000000009238: BEBC0180
	v_readlane_b32 s82, v3, 10                                 // 00000000923C: D2890052 00011503
	s_and_b32 s82, s82, 0xffffff                               // 000000009244: 8652FF52 00FFFFFF
	s_cmp_lt_u32 s82, s66                                      // 00000000924C: BF0A4252
	s_cselect_b32 s20, s36, s60                                // 000000009250: 85143C24
	v_readlane_b32 s82, v3, 11                                 // 000000009254: D2890052 00011703
	s_and_b32 s82, s82, 0xffffff                               // 00000000925C: 8652FF52 00FFFFFF
	s_cmp_lt_u32 s82, s66                                      // 000000009264: BF0A4252
	s_cselect_b32 s21, s36, s60                                // 000000009268: 85153C24
	s_mov_b64 exec, s[20:21]                                   // 00000000926C: BEFE0114
	global_atomic_add_f32 v6, v159, s[8:9] offset:8            // 000000009270: DD348008 00089F06
	global_atomic_add_f32 v6, v163, s[8:9] offset:264          // 000000009278: DD348108 0008A306
	global_atomic_add_f32 v6, v167, s[8:9] offset:520          // 000000009280: DD348208 0008A706
	global_atomic_add_f32 v6, v171, s[8:9] offset:776          // 000000009288: DD348308 0008AB06
	s_mov_b64 exec, s[36:37]                                   // 000000009290: BEFE0124
	v_mov_b32_e32 v6, v52                                      // 000000009294: 7E0C0334
	s_mov_b64 s[60:61], 0                                      // 000000009298: BEBC0180
	v_readlane_b32 s82, v3, 12                                 // 00000000929C: D2890052 00011903
	s_and_b32 s82, s82, 0xffffff                               // 0000000092A4: 8652FF52 00FFFFFF
	s_cmp_lt_u32 s82, s66                                      // 0000000092AC: BF0A4252
	s_cselect_b32 s20, s36, s60                                // 0000000092B0: 85143C24
	v_readlane_b32 s82, v3, 13                                 // 0000000092B4: D2890052 00011B03
	s_and_b32 s82, s82, 0xffffff                               // 0000000092BC: 8652FF52 00FFFFFF
	s_cmp_lt_u32 s82, s66                                      // 0000000092C4: BF0A4252
	s_cselect_b32 s21, s36, s60                                // 0000000092C8: 85153C24
	s_mov_b64 exec, s[20:21]                                   // 0000000092CC: BEFE0114
	global_atomic_add_f32 v6, v174, s[8:9] offset:8            // 0000000092D0: DD348008 0008AE06
	global_atomic_add_f32 v6, v178, s[8:9] offset:264          // 0000000092D8: DD348108 0008B206
	global_atomic_add_f32 v6, v182, s[8:9] offset:520          // 0000000092E0: DD348208 0008B606
	global_atomic_add_f32 v6, v186, s[8:9] offset:776          // 0000000092E8: DD348308 0008BA06
	s_mov_b64 exec, s[36:37]                                   // 0000000092F0: BEFE0124
	v_mov_b32_e32 v6, v53                                      // 0000000092F4: 7E0C0335
	s_mov_b64 s[60:61], 0                                      // 0000000092F8: BEBC0180
	v_readlane_b32 s82, v3, 14                                 // 0000000092FC: D2890052 00011D03
	s_and_b32 s82, s82, 0xffffff                               // 000000009304: 8652FF52 00FFFFFF
	s_cmp_lt_u32 s82, s66                                      // 00000000930C: BF0A4252
	s_cselect_b32 s20, s36, s60                                // 000000009310: 85143C24
	v_readlane_b32 s82, v3, 15                                 // 000000009314: D2890052 00011F03
	s_and_b32 s82, s82, 0xffffff                               // 00000000931C: 8652FF52 00FFFFFF
	s_cmp_lt_u32 s82, s66                                      // 000000009324: BF0A4252
	s_cselect_b32 s21, s36, s60                                // 000000009328: 85153C24
	s_mov_b64 exec, s[20:21]                                   // 00000000932C: BEFE0114
	global_atomic_add_f32 v6, v175, s[8:9] offset:8            // 000000009330: DD348008 0008AF06
	global_atomic_add_f32 v6, v179, s[8:9] offset:264          // 000000009338: DD348108 0008B306
	global_atomic_add_f32 v6, v183, s[8:9] offset:520          // 000000009340: DD348208 0008B706
	global_atomic_add_f32 v6, v187, s[8:9] offset:776          // 000000009348: DD348308 0008BB06
	s_mov_b64 exec, s[36:37]                                   // 000000009350: BEFE0124
	s_branch label_31DD                                        // 000000009354: BF821784

0000000000009358 <label_1A59>:
	s_waitcnt vmcnt(16) lgkmcnt(0)                             // 000000009358: BF8C4070
	v_mfma_f32_16x16x32_fp8_fp8 v[60:63], a[64:65], a[0:1], v[60:63]// 00000000935C: D3F3003C 1CF20140
	buffer_load_dwordx4 a[128:131], v54, s[24:27], 0 offen     // 000000009364: E05C1000 80868036
	v_mfma_f32_16x16x32_fp8_fp8 v[60:63], a[66:67], a[2:3], v[60:63]// 00000000936C: D3F3003C 1CF20542
	v_mfma_f32_16x16x32_fp8_fp8 v[60:63], a[68:69], a[4:5], v[60:63]// 000000009374: D3F3003C 1CF20944
	v_mfma_f32_16x16x32_fp8_fp8 v[60:63], a[70:71], a[6:7], v[60:63]// 00000000937C: D3F3003C 1CF20D46
	v_mfma_f32_16x16x32_fp8_fp8 v[76:79], a[72:73], a[0:1], v[76:79]// 000000009384: D3F3004C 1D320148
	buffer_load_dwordx4 a[132:135], v54, s[24:27], 0 offen offset:1024// 00000000938C: E05C1400 80868436
	v_mfma_f32_16x16x32_fp8_fp8 v[76:79], a[74:75], a[2:3], v[76:79]// 000000009394: D3F3004C 1D32054A
	v_mfma_f32_16x16x32_fp8_fp8 v[76:79], a[76:77], a[4:5], v[76:79]// 00000000939C: D3F3004C 1D32094C
	v_mfma_f32_16x16x32_fp8_fp8 v[76:79], a[78:79], a[6:7], v[76:79]// 0000000093A4: D3F3004C 1D320D4E
	v_mfma_f32_16x16x32_fp8_fp8 v[92:95], a[80:81], a[0:1], v[92:95]// 0000000093AC: D3F3005C 1D720150
	buffer_load_dwordx4 a[136:139], v55, s[24:27], 0 offen     // 0000000093B4: E05C1000 80868837
	v_mfma_f32_16x16x32_fp8_fp8 v[92:95], a[82:83], a[2:3], v[92:95]// 0000000093BC: D3F3005C 1D720552
	v_mfma_f32_16x16x32_fp8_fp8 v[92:95], a[84:85], a[4:5], v[92:95]// 0000000093C4: D3F3005C 1D720954
	v_mfma_f32_16x16x32_fp8_fp8 v[92:95], a[86:87], a[6:7], v[92:95]// 0000000093CC: D3F3005C 1D720D56
	v_mfma_f32_16x16x32_fp8_fp8 v[108:111], a[88:89], a[0:1], v[108:111]// 0000000093D4: D3F3006C 1DB20158
	buffer_load_dwordx4 a[140:143], v55, s[24:27], 0 offen offset:1024// 0000000093DC: E05C1400 80868C37
	v_mfma_f32_16x16x32_fp8_fp8 v[108:111], a[90:91], a[2:3], v[108:111]// 0000000093E4: D3F3006C 1DB2055A
	v_mfma_f32_16x16x32_fp8_fp8 v[108:111], a[92:93], a[4:5], v[108:111]// 0000000093EC: D3F3006C 1DB2095C
	v_mfma_f32_16x16x32_fp8_fp8 v[108:111], a[94:95], a[6:7], v[108:111]// 0000000093F4: D3F3006C 1DB20D5E
	v_mfma_f32_16x16x32_fp8_fp8 v[64:67], a[64:65], a[8:9], v[64:67]// 0000000093FC: D3F30040 1D021140
	buffer_load_dwordx4 a[144:147], v56, s[24:27], 0 offen     // 000000009404: E05C1000 80869038
	v_mfma_f32_16x16x32_fp8_fp8 v[64:67], a[66:67], a[10:11], v[64:67]// 00000000940C: D3F30040 1D021542
	v_mfma_f32_16x16x32_fp8_fp8 v[64:67], a[68:69], a[12:13], v[64:67]// 000000009414: D3F30040 1D021944
	v_mfma_f32_16x16x32_fp8_fp8 v[64:67], a[70:71], a[14:15], v[64:67]// 00000000941C: D3F30040 1D021D46
	v_mfma_f32_16x16x32_fp8_fp8 v[80:83], a[72:73], a[8:9], v[80:83]// 000000009424: D3F30050 1D421148
	buffer_load_dwordx4 a[148:151], v56, s[24:27], 0 offen offset:1024// 00000000942C: E05C1400 80869438
	v_mfma_f32_16x16x32_fp8_fp8 v[80:83], a[74:75], a[10:11], v[80:83]// 000000009434: D3F30050 1D42154A
	v_mfma_f32_16x16x32_fp8_fp8 v[80:83], a[76:77], a[12:13], v[80:83]// 00000000943C: D3F30050 1D42194C
	v_mfma_f32_16x16x32_fp8_fp8 v[80:83], a[78:79], a[14:15], v[80:83]// 000000009444: D3F30050 1D421D4E
	v_mfma_f32_16x16x32_fp8_fp8 v[96:99], a[80:81], a[8:9], v[96:99]// 00000000944C: D3F30060 1D821150
	buffer_load_dwordx4 a[152:155], v57, s[24:27], 0 offen     // 000000009454: E05C1000 80869839
	v_mfma_f32_16x16x32_fp8_fp8 v[96:99], a[82:83], a[10:11], v[96:99]// 00000000945C: D3F30060 1D821552
	v_mfma_f32_16x16x32_fp8_fp8 v[96:99], a[84:85], a[12:13], v[96:99]// 000000009464: D3F30060 1D821954
	v_mfma_f32_16x16x32_fp8_fp8 v[96:99], a[86:87], a[14:15], v[96:99]// 00000000946C: D3F30060 1D821D56
	v_mfma_f32_16x16x32_fp8_fp8 v[112:115], a[88:89], a[8:9], v[112:115]// 000000009474: D3F30070 1DC21158
	buffer_load_dwordx4 a[156:159], v57, s[24:27], 0 offen offset:1024// 00000000947C: E05C1400 80869C39
	buffer_load_dword v46, s[20:23], 0 offen lds               // 000000009484: E0511000 8005002E
	s_add_u32 m0, 0x100, s50                                   // 00000000948C: 807C32FF 00000100
	v_mfma_f32_16x16x32_fp8_fp8 v[112:115], a[90:91], a[10:11], v[112:115]// 000000009494: D3F30070 1DC2155A
	v_mfma_f32_16x16x32_fp8_fp8 v[112:115], a[92:93], a[12:13], v[112:115]// 00000000949C: D3F30070 1DC2195C
	buffer_load_dword v47, s[20:23], 0 offen lds               // 0000000094A4: E0511000 8005002F
	s_add_u32 m0, 0x200, s50                                   // 0000000094AC: 807C32FF 00000200
	v_mfma_f32_16x16x32_fp8_fp8 v[112:115], a[94:95], a[14:15], v[112:115]// 0000000094B4: D3F30070 1DC21D5E
	v_mfma_f32_16x16x32_fp8_fp8 v[68:71], a[64:65], a[16:17], v[68:71]// 0000000094BC: D3F30044 1D122140
	buffer_load_dword v48, s[20:23], 0 offen lds               // 0000000094C4: E0511000 80050030
	s_add_u32 m0, 0x300, s50                                   // 0000000094CC: 807C32FF 00000300
	v_mfma_f32_16x16x32_fp8_fp8 v[68:71], a[66:67], a[18:19], v[68:71]// 0000000094D4: D3F30044 1D122542
	v_mfma_f32_16x16x32_fp8_fp8 v[68:71], a[68:69], a[20:21], v[68:71]// 0000000094DC: D3F30044 1D122944
	buffer_load_dword v49, s[20:23], 0 offen lds               // 0000000094E4: E0511000 80050031
	s_add_u32 m0, 0x400, s50                                   // 0000000094EC: 807C32FF 00000400
	v_mfma_f32_16x16x32_fp8_fp8 v[68:71], a[70:71], a[22:23], v[68:71]// 0000000094F4: D3F30044 1D122D46
	v_mfma_f32_16x16x32_fp8_fp8 v[84:87], a[72:73], a[16:17], v[84:87]// 0000000094FC: D3F30054 1D522148
	buffer_load_dword v50, s[20:23], 0 offen lds               // 000000009504: E0511000 80050032
	s_add_u32 m0, 0x500, s50                                   // 00000000950C: 807C32FF 00000500
	v_mfma_f32_16x16x32_fp8_fp8 v[84:87], a[74:75], a[18:19], v[84:87]// 000000009514: D3F30054 1D52254A
	v_mfma_f32_16x16x32_fp8_fp8 v[84:87], a[76:77], a[20:21], v[84:87]// 00000000951C: D3F30054 1D52294C
	buffer_load_dword v51, s[20:23], 0 offen lds               // 000000009524: E0511000 80050033
	s_add_u32 m0, 0x600, s50                                   // 00000000952C: 807C32FF 00000600
	v_mfma_f32_16x16x32_fp8_fp8 v[84:87], a[78:79], a[22:23], v[84:87]// 000000009534: D3F30054 1D522D4E
	v_mfma_f32_16x16x32_fp8_fp8 v[100:103], a[80:81], a[16:17], v[100:103]// 00000000953C: D3F30064 1D922150
	buffer_load_dword v52, s[20:23], 0 offen lds               // 000000009544: E0511000 80050034
	s_add_u32 m0, 0x700, s50                                   // 00000000954C: 807C32FF 00000700
	v_mfma_f32_16x16x32_fp8_fp8 v[100:103], a[82:83], a[18:19], v[100:103]// 000000009554: D3F30064 1D922552
	v_mfma_f32_16x16x32_fp8_fp8 v[100:103], a[84:85], a[20:21], v[100:103]// 00000000955C: D3F30064 1D922954
	buffer_load_dword v53, s[20:23], 0 offen lds               // 000000009564: E0511000 80050035
	s_add_u32 m0, 0, s48                                       // 00000000956C: 807C3080
	v_mfma_f32_16x16x32_fp8_fp8 v[100:103], a[86:87], a[22:23], v[100:103]// 000000009570: D3F30064 1D922D56
	v_mfma_f32_16x16x32_fp8_fp8 v[116:119], a[88:89], a[16:17], v[116:119]// 000000009578: D3F30074 1DD22158
	v_mfma_f32_16x16x32_fp8_fp8 v[116:119], a[90:91], a[18:19], v[116:119]// 000000009580: D3F30074 1DD2255A
	v_mfma_f32_16x16x32_fp8_fp8 v[116:119], a[92:93], a[20:21], v[116:119]// 000000009588: D3F30074 1DD2295C
	v_mfma_f32_16x16x32_fp8_fp8 v[116:119], a[94:95], a[22:23], v[116:119]// 000000009590: D3F30074 1DD22D5E
	v_mfma_f32_16x16x32_fp8_fp8 v[72:75], a[64:65], a[24:25], v[72:75]// 000000009598: D3F30048 1D223140
	v_mfma_f32_16x16x32_fp8_fp8 v[72:75], a[66:67], a[26:27], v[72:75]// 0000000095A0: D3F30048 1D223542
	v_mfma_f32_16x16x32_fp8_fp8 v[72:75], a[68:69], a[28:29], v[72:75]// 0000000095A8: D3F30048 1D223944
	v_mfma_f32_16x16x32_fp8_fp8 v[72:75], a[70:71], a[30:31], v[72:75]// 0000000095B0: D3F30048 1D223D46
	v_mfma_f32_16x16x32_fp8_fp8 v[88:91], a[72:73], a[24:25], v[88:91]// 0000000095B8: D3F30058 1D623148
	v_mfma_f32_16x16x32_fp8_fp8 v[88:91], a[74:75], a[26:27], v[88:91]// 0000000095C0: D3F30058 1D62354A
	v_mfma_f32_16x16x32_fp8_fp8 v[88:91], a[76:77], a[28:29], v[88:91]// 0000000095C8: D3F30058 1D62394C
	v_mfma_f32_16x16x32_fp8_fp8 v[88:91], a[78:79], a[30:31], v[88:91]// 0000000095D0: D3F30058 1D623D4E
	v_mfma_f32_16x16x32_fp8_fp8 v[104:107], a[80:81], a[24:25], v[104:107]// 0000000095D8: D3F30068 1DA23150
	v_mfma_f32_16x16x32_fp8_fp8 v[104:107], a[82:83], a[26:27], v[104:107]// 0000000095E0: D3F30068 1DA23552
	v_mfma_f32_16x16x32_fp8_fp8 v[104:107], a[84:85], a[28:29], v[104:107]// 0000000095E8: D3F30068 1DA23954
	v_mfma_f32_16x16x32_fp8_fp8 v[104:107], a[86:87], a[30:31], v[104:107]// 0000000095F0: D3F30068 1DA23D56
	v_mfma_f32_16x16x32_fp8_fp8 v[120:123], a[88:89], a[24:25], v[120:123]// 0000000095F8: D3F30078 1DE23158
	v_mfma_f32_16x16x32_fp8_fp8 v[120:123], a[90:91], a[26:27], v[120:123]// 000000009600: D3F30078 1DE2355A
	v_mfma_f32_16x16x32_fp8_fp8 v[120:123], a[92:93], a[28:29], v[120:123]// 000000009608: D3F30078 1DE2395C
	v_mfma_f32_16x16x32_fp8_fp8 v[120:123], a[94:95], a[30:31], v[120:123]// 000000009610: D3F30078 1DE23D5E
	s_waitcnt vmcnt(16)                                        // 000000009618: BF8C4F70
	s_barrier                                                  // 00000000961C: BF8A0000
	v_mfma_f32_16x16x32_fp8_fp8 v[124:127], a[96:97], a[0:1], v[124:127]// 000000009620: D3F3007C 1DF20160
	buffer_load_dwordx4 a[64:67], v54, s[84:87], 0 offen       // 000000009628: E05C1000 80954036
	v_mfma_f32_16x16x32_fp8_fp8 v[124:127], a[98:99], a[2:3], v[124:127]// 000000009630: D3F3007C 1DF20562
	v_mfma_f32_16x16x32_fp8_fp8 v[124:127], a[100:101], a[4:5], v[124:127]// 000000009638: D3F3007C 1DF20964
	ds_read_b128 a[32:35], v2 offset:8320                      // 000000009640: DBFE2080 20000002
	ds_read_b128 a[36:39], v2 offset:8384                      // 000000009648: DBFE20C0 24000002
	v_mfma_f32_16x16x32_fp8_fp8 v[124:127], a[102:103], a[6:7], v[124:127]// 000000009650: D3F3007C 1DF20D66
	v_mfma_f32_16x16x32_fp8_fp8 v[140:143], a[104:105], a[0:1], v[140:143]// 000000009658: D3F3008C 1E320168
	buffer_load_dwordx4 a[68:71], v54, s[84:87], 0 offen offset:1024// 000000009660: E05C1400 80954436
	v_mfma_f32_16x16x32_fp8_fp8 v[140:143], a[106:107], a[2:3], v[140:143]// 000000009668: D3F3008C 1E32056A
	v_mfma_f32_16x16x32_fp8_fp8 v[140:143], a[108:109], a[4:5], v[140:143]// 000000009670: D3F3008C 1E32096C
	ds_read_b128 a[40:43], v2 offset:8832                      // 000000009678: DBFE2280 28000002
	ds_read_b128 a[44:47], v2 offset:8896                      // 000000009680: DBFE22C0 2C000002
	v_mfma_f32_16x16x32_fp8_fp8 v[140:143], a[110:111], a[6:7], v[140:143]// 000000009688: D3F3008C 1E320D6E
	v_mfma_f32_16x16x32_fp8_fp8 v[156:159], a[112:113], a[0:1], v[156:159]// 000000009690: D3F3009C 1E720170
	buffer_load_dwordx4 a[72:75], v55, s[84:87], 0 offen       // 000000009698: E05C1000 80954837
	v_mfma_f32_16x16x32_fp8_fp8 v[156:159], a[114:115], a[2:3], v[156:159]// 0000000096A0: D3F3009C 1E720572
	v_mfma_f32_16x16x32_fp8_fp8 v[156:159], a[116:117], a[4:5], v[156:159]// 0000000096A8: D3F3009C 1E720974
	ds_read_b128 a[48:51], v2 offset:9344                      // 0000000096B0: DBFE2480 30000002
	ds_read_b128 a[52:55], v2 offset:9408                      // 0000000096B8: DBFE24C0 34000002
	v_mfma_f32_16x16x32_fp8_fp8 v[156:159], a[118:119], a[6:7], v[156:159]// 0000000096C0: D3F3009C 1E720D76
	v_mfma_f32_16x16x32_fp8_fp8 v[172:175], a[120:121], a[0:1], v[172:175]// 0000000096C8: D3F300AC 1EB20178
	buffer_load_dwordx4 a[76:79], v55, s[84:87], 0 offen offset:1024// 0000000096D0: E05C1400 80954C37
	v_mfma_f32_16x16x32_fp8_fp8 v[172:175], a[122:123], a[2:3], v[172:175]// 0000000096D8: D3F300AC 1EB2057A
	v_mfma_f32_16x16x32_fp8_fp8 v[172:175], a[124:125], a[4:5], v[172:175]// 0000000096E0: D3F300AC 1EB2097C
	ds_read_b128 a[56:59], v2 offset:9856                      // 0000000096E8: DBFE2680 38000002
	ds_read_b128 a[60:63], v2 offset:9920                      // 0000000096F0: DBFE26C0 3C000002
	v_mfma_f32_16x16x32_fp8_fp8 v[172:175], a[126:127], a[6:7], v[172:175]// 0000000096F8: D3F300AC 1EB20D7E
	v_mfma_f32_16x16x32_fp8_fp8 v[128:131], a[96:97], a[8:9], v[128:131]// 000000009700: D3F30080 1E021160
	buffer_load_dwordx4 a[80:83], v56, s[84:87], 0 offen       // 000000009708: E05C1000 80955038
	v_mfma_f32_16x16x32_fp8_fp8 v[128:131], a[98:99], a[10:11], v[128:131]// 000000009710: D3F30080 1E021562
	v_mfma_f32_16x16x32_fp8_fp8 v[128:131], a[100:101], a[12:13], v[128:131]// 000000009718: D3F30080 1E021964
	v_mfma_f32_16x16x32_fp8_fp8 v[128:131], a[102:103], a[14:15], v[128:131]// 000000009720: D3F30080 1E021D66
	v_mfma_f32_16x16x32_fp8_fp8 v[144:147], a[104:105], a[8:9], v[144:147]// 000000009728: D3F30090 1E421168
	buffer_load_dwordx4 a[84:87], v56, s[84:87], 0 offen offset:1024// 000000009730: E05C1400 80955438
	v_mfma_f32_16x16x32_fp8_fp8 v[144:147], a[106:107], a[10:11], v[144:147]// 000000009738: D3F30090 1E42156A
	v_mfma_f32_16x16x32_fp8_fp8 v[144:147], a[108:109], a[12:13], v[144:147]// 000000009740: D3F30090 1E42196C
	v_mfma_f32_16x16x32_fp8_fp8 v[144:147], a[110:111], a[14:15], v[144:147]// 000000009748: D3F30090 1E421D6E
	v_mfma_f32_16x16x32_fp8_fp8 v[160:163], a[112:113], a[8:9], v[160:163]// 000000009750: D3F300A0 1E821170
	buffer_load_dwordx4 a[88:91], v57, s[84:87], 0 offen       // 000000009758: E05C1000 80955839
	v_mfma_f32_16x16x32_fp8_fp8 v[160:163], a[114:115], a[10:11], v[160:163]// 000000009760: D3F300A0 1E821572
	v_mfma_f32_16x16x32_fp8_fp8 v[160:163], a[116:117], a[12:13], v[160:163]// 000000009768: D3F300A0 1E821974
	v_mfma_f32_16x16x32_fp8_fp8 v[160:163], a[118:119], a[14:15], v[160:163]// 000000009770: D3F300A0 1E821D76
	v_mfma_f32_16x16x32_fp8_fp8 v[176:179], a[120:121], a[8:9], v[176:179]// 000000009778: D3F300B0 1EC21178
	buffer_load_dwordx4 a[92:95], v57, s[84:87], 0 offen offset:1024// 000000009780: E05C1400 80955C39
	v_mfma_f32_16x16x32_fp8_fp8 v[176:179], a[122:123], a[10:11], v[176:179]// 000000009788: D3F300B0 1EC2157A
	v_mfma_f32_16x16x32_fp8_fp8 v[176:179], a[124:125], a[12:13], v[176:179]// 000000009790: D3F300B0 1EC2197C
	v_mfma_f32_16x16x32_fp8_fp8 v[176:179], a[126:127], a[14:15], v[176:179]// 000000009798: D3F300B0 1EC21D7E
	v_mfma_f32_16x16x32_fp8_fp8 v[132:135], a[96:97], a[16:17], v[132:135]// 0000000097A0: D3F30084 1E122160
	v_mfma_f32_16x16x32_fp8_fp8 v[132:135], a[98:99], a[18:19], v[132:135]// 0000000097A8: D3F30084 1E122562
	v_mfma_f32_16x16x32_fp8_fp8 v[132:135], a[100:101], a[20:21], v[132:135]// 0000000097B0: D3F30084 1E122964
	v_mfma_f32_16x16x32_fp8_fp8 v[132:135], a[102:103], a[22:23], v[132:135]// 0000000097B8: D3F30084 1E122D66
	v_mfma_f32_16x16x32_fp8_fp8 v[148:151], a[104:105], a[16:17], v[148:151]// 0000000097C0: D3F30094 1E522168
	v_mfma_f32_16x16x32_fp8_fp8 v[148:151], a[106:107], a[18:19], v[148:151]// 0000000097C8: D3F30094 1E52256A
	v_mfma_f32_16x16x32_fp8_fp8 v[148:151], a[108:109], a[20:21], v[148:151]// 0000000097D0: D3F30094 1E52296C
	v_mfma_f32_16x16x32_fp8_fp8 v[148:151], a[110:111], a[22:23], v[148:151]// 0000000097D8: D3F30094 1E522D6E
	v_mfma_f32_16x16x32_fp8_fp8 v[164:167], a[112:113], a[16:17], v[164:167]// 0000000097E0: D3F300A4 1E922170
	v_mfma_f32_16x16x32_fp8_fp8 v[164:167], a[114:115], a[18:19], v[164:167]// 0000000097E8: D3F300A4 1E922572
	v_mfma_f32_16x16x32_fp8_fp8 v[164:167], a[116:117], a[20:21], v[164:167]// 0000000097F0: D3F300A4 1E922974
	v_mfma_f32_16x16x32_fp8_fp8 v[164:167], a[118:119], a[22:23], v[164:167]// 0000000097F8: D3F300A4 1E922D76
	v_mfma_f32_16x16x32_fp8_fp8 v[180:183], a[120:121], a[16:17], v[180:183]// 000000009800: D3F300B4 1ED22178
	v_mfma_f32_16x16x32_fp8_fp8 v[180:183], a[122:123], a[18:19], v[180:183]// 000000009808: D3F300B4 1ED2257A
	v_mfma_f32_16x16x32_fp8_fp8 v[180:183], a[124:125], a[20:21], v[180:183]// 000000009810: D3F300B4 1ED2297C
	v_mfma_f32_16x16x32_fp8_fp8 v[180:183], a[126:127], a[22:23], v[180:183]// 000000009818: D3F300B4 1ED22D7E
	v_mfma_f32_16x16x32_fp8_fp8 v[136:139], a[96:97], a[24:25], v[136:139]// 000000009820: D3F30088 1E223160
	v_mfma_f32_16x16x32_fp8_fp8 v[136:139], a[98:99], a[26:27], v[136:139]// 000000009828: D3F30088 1E223562
	v_mfma_f32_16x16x32_fp8_fp8 v[136:139], a[100:101], a[28:29], v[136:139]// 000000009830: D3F30088 1E223964
	v_mfma_f32_16x16x32_fp8_fp8 v[136:139], a[102:103], a[30:31], v[136:139]// 000000009838: D3F30088 1E223D66
	v_mfma_f32_16x16x32_fp8_fp8 v[152:155], a[104:105], a[24:25], v[152:155]// 000000009840: D3F30098 1E623168
	v_mfma_f32_16x16x32_fp8_fp8 v[152:155], a[106:107], a[26:27], v[152:155]// 000000009848: D3F30098 1E62356A
	v_mfma_f32_16x16x32_fp8_fp8 v[152:155], a[108:109], a[28:29], v[152:155]// 000000009850: D3F30098 1E62396C
	v_mfma_f32_16x16x32_fp8_fp8 v[152:155], a[110:111], a[30:31], v[152:155]// 000000009858: D3F30098 1E623D6E
	v_mfma_f32_16x16x32_fp8_fp8 v[168:171], a[112:113], a[24:25], v[168:171]// 000000009860: D3F300A8 1EA23170
	s_add_u32 s60, 0x180, s80                                  // 000000009868: 803C50FF 00000180
	s_cmp_lt_u32 s60, s81                                      // 000000009870: BF0A513C
	s_cselect_b32 s57, s57, 0                                  // 000000009874: 85398039
	v_mfma_f32_16x16x32_fp8_fp8 v[168:171], a[114:115], a[26:27], v[168:171]// 000000009878: D3F300A8 1EA23572
	s_add_u32 s60, 0x100, s80                                  // 000000009880: 803C50FF 00000100
	s_cmp_lt_u32 s60, s81                                      // 000000009888: BF0A513C
	s_cselect_b32 s58, s58, 0                                  // 00000000988C: 853A803A
	v_mfma_f32_16x16x32_fp8_fp8 v[168:171], a[116:117], a[28:29], v[168:171]// 000000009890: D3F300A8 1EA23974
	s_add_u32 s60, 0x100, s80                                  // 000000009898: 803C50FF 00000100
	s_cmp_lt_u32 s60, s81                                      // 0000000098A0: BF0A513C
	s_cselect_b32 s83, s83, 0                                  // 0000000098A4: 85538053
	v_mfma_f32_16x16x32_fp8_fp8 v[168:171], a[118:119], a[30:31], v[168:171]// 0000000098A8: D3F300A8 1EA23D76
	s_add_u32 s24, s58, s24                                    // 0000000098B0: 8018183A
	s_addc_u32 s25, 0, s25                                     // 0000000098B4: 82191980
	v_mfma_f32_16x16x32_fp8_fp8 v[184:187], a[120:121], a[24:25], v[184:187]// 0000000098B8: D3F300B8 1EE23178
	s_add_u32 s20, s57, s20                                    // 0000000098C0: 80141439
	s_addc_u32 s21, 0, s21                                     // 0000000098C4: 82151580
	v_mfma_f32_16x16x32_fp8_fp8 v[184:187], a[122:123], a[26:27], v[184:187]// 0000000098C8: D3F300B8 1EE2357A
	s_add_u32 s84, s83, s84                                    // 0000000098D0: 80545453
	s_addc_u32 s85, 0, s85                                     // 0000000098D4: 82555580
	v_mfma_f32_16x16x32_fp8_fp8 v[184:187], a[124:125], a[28:29], v[184:187]// 0000000098D8: D3F300B8 1EE2397C
	v_mfma_f32_16x16x32_fp8_fp8 v[184:187], a[126:127], a[30:31], v[184:187]// 0000000098E0: D3F300B8 1EE23D7E
	s_addk_i32 s80, 0x80                                       // 0000000098E8: B7500080
	s_cmp_lt_i32 s80, s81                                      // 0000000098EC: BF045150
	s_cbranch_scc0 label_22C4                                  // 0000000098F0: BF840704
	s_waitcnt vmcnt(16) lgkmcnt(0)                             // 0000000098F4: BF8C4070
	v_mfma_f32_16x16x32_fp8_fp8 v[60:63], a[128:129], a[32:33], v[60:63]// 0000000098F8: D3F3003C 1CF24180
	buffer_load_dwordx4 a[96:99], v54, s[24:27], 0 offen       // 000000009900: E05C1000 80866036
	v_mfma_f32_16x16x32_fp8_fp8 v[60:63], a[130:131], a[34:35], v[60:63]// 000000009908: D3F3003C 1CF24582
	v_mfma_f32_16x16x32_fp8_fp8 v[60:63], a[132:133], a[36:37], v[60:63]// 000000009910: D3F3003C 1CF24984
	v_mfma_f32_16x16x32_fp8_fp8 v[60:63], a[134:135], a[38:39], v[60:63]// 000000009918: D3F3003C 1CF24D86
	v_mfma_f32_16x16x32_fp8_fp8 v[76:79], a[136:137], a[32:33], v[76:79]// 000000009920: D3F3004C 1D324188
	buffer_load_dwordx4 a[100:103], v54, s[24:27], 0 offen offset:1024// 000000009928: E05C1400 80866436
	v_mfma_f32_16x16x32_fp8_fp8 v[76:79], a[138:139], a[34:35], v[76:79]// 000000009930: D3F3004C 1D32458A
	v_mfma_f32_16x16x32_fp8_fp8 v[76:79], a[140:141], a[36:37], v[76:79]// 000000009938: D3F3004C 1D32498C
	v_mfma_f32_16x16x32_fp8_fp8 v[76:79], a[142:143], a[38:39], v[76:79]// 000000009940: D3F3004C 1D324D8E
	v_mfma_f32_16x16x32_fp8_fp8 v[92:95], a[144:145], a[32:33], v[92:95]// 000000009948: D3F3005C 1D724190
	buffer_load_dwordx4 a[104:107], v55, s[24:27], 0 offen     // 000000009950: E05C1000 80866837
	v_mfma_f32_16x16x32_fp8_fp8 v[92:95], a[146:147], a[34:35], v[92:95]// 000000009958: D3F3005C 1D724592
	v_mfma_f32_16x16x32_fp8_fp8 v[92:95], a[148:149], a[36:37], v[92:95]// 000000009960: D3F3005C 1D724994
	v_mfma_f32_16x16x32_fp8_fp8 v[92:95], a[150:151], a[38:39], v[92:95]// 000000009968: D3F3005C 1D724D96
	v_mfma_f32_16x16x32_fp8_fp8 v[108:111], a[152:153], a[32:33], v[108:111]// 000000009970: D3F3006C 1DB24198
	buffer_load_dwordx4 a[108:111], v55, s[24:27], 0 offen offset:1024// 000000009978: E05C1400 80866C37
	v_mfma_f32_16x16x32_fp8_fp8 v[108:111], a[154:155], a[34:35], v[108:111]// 000000009980: D3F3006C 1DB2459A
	v_mfma_f32_16x16x32_fp8_fp8 v[108:111], a[156:157], a[36:37], v[108:111]// 000000009988: D3F3006C 1DB2499C
	v_mfma_f32_16x16x32_fp8_fp8 v[108:111], a[158:159], a[38:39], v[108:111]// 000000009990: D3F3006C 1DB24D9E
	v_mfma_f32_16x16x32_fp8_fp8 v[64:67], a[128:129], a[40:41], v[64:67]// 000000009998: D3F30040 1D025180
	buffer_load_dwordx4 a[112:115], v56, s[24:27], 0 offen     // 0000000099A0: E05C1000 80867038
	v_mfma_f32_16x16x32_fp8_fp8 v[64:67], a[130:131], a[42:43], v[64:67]// 0000000099A8: D3F30040 1D025582
	v_mfma_f32_16x16x32_fp8_fp8 v[64:67], a[132:133], a[44:45], v[64:67]// 0000000099B0: D3F30040 1D025984
	v_mfma_f32_16x16x32_fp8_fp8 v[64:67], a[134:135], a[46:47], v[64:67]// 0000000099B8: D3F30040 1D025D86
	v_mfma_f32_16x16x32_fp8_fp8 v[80:83], a[136:137], a[40:41], v[80:83]// 0000000099C0: D3F30050 1D425188
	buffer_load_dwordx4 a[116:119], v56, s[24:27], 0 offen offset:1024// 0000000099C8: E05C1400 80867438
	v_mfma_f32_16x16x32_fp8_fp8 v[80:83], a[138:139], a[42:43], v[80:83]// 0000000099D0: D3F30050 1D42558A
	v_mfma_f32_16x16x32_fp8_fp8 v[80:83], a[140:141], a[44:45], v[80:83]// 0000000099D8: D3F30050 1D42598C
	v_mfma_f32_16x16x32_fp8_fp8 v[80:83], a[142:143], a[46:47], v[80:83]// 0000000099E0: D3F30050 1D425D8E
	v_mfma_f32_16x16x32_fp8_fp8 v[96:99], a[144:145], a[40:41], v[96:99]// 0000000099E8: D3F30060 1D825190
	buffer_load_dwordx4 a[120:123], v57, s[24:27], 0 offen     // 0000000099F0: E05C1000 80867839
	v_mfma_f32_16x16x32_fp8_fp8 v[96:99], a[146:147], a[42:43], v[96:99]// 0000000099F8: D3F30060 1D825592
	v_mfma_f32_16x16x32_fp8_fp8 v[96:99], a[148:149], a[44:45], v[96:99]// 000000009A00: D3F30060 1D825994
	v_mfma_f32_16x16x32_fp8_fp8 v[96:99], a[150:151], a[46:47], v[96:99]// 000000009A08: D3F30060 1D825D96
	v_mfma_f32_16x16x32_fp8_fp8 v[112:115], a[152:153], a[40:41], v[112:115]// 000000009A10: D3F30070 1DC25198
	buffer_load_dwordx4 a[124:127], v57, s[24:27], 0 offen offset:1024// 000000009A18: E05C1400 80867C39
	buffer_load_dword v46, s[20:23], 0 offen lds               // 000000009A20: E0511000 8005002E
	s_add_u32 m0, 0x100, s48                                   // 000000009A28: 807C30FF 00000100
	v_mfma_f32_16x16x32_fp8_fp8 v[112:115], a[154:155], a[42:43], v[112:115]// 000000009A30: D3F30070 1DC2559A
	v_mfma_f32_16x16x32_fp8_fp8 v[112:115], a[156:157], a[44:45], v[112:115]// 000000009A38: D3F30070 1DC2599C
	buffer_load_dword v47, s[20:23], 0 offen lds               // 000000009A40: E0511000 8005002F
	s_add_u32 m0, 0x200, s48                                   // 000000009A48: 807C30FF 00000200
	v_mfma_f32_16x16x32_fp8_fp8 v[112:115], a[158:159], a[46:47], v[112:115]// 000000009A50: D3F30070 1DC25D9E
	v_mfma_f32_16x16x32_fp8_fp8 v[68:71], a[128:129], a[48:49], v[68:71]// 000000009A58: D3F30044 1D126180
	buffer_load_dword v48, s[20:23], 0 offen lds               // 000000009A60: E0511000 80050030
	s_add_u32 m0, 0x300, s48                                   // 000000009A68: 807C30FF 00000300
	v_mfma_f32_16x16x32_fp8_fp8 v[68:71], a[130:131], a[50:51], v[68:71]// 000000009A70: D3F30044 1D126582
	v_mfma_f32_16x16x32_fp8_fp8 v[68:71], a[132:133], a[52:53], v[68:71]// 000000009A78: D3F30044 1D126984
	buffer_load_dword v49, s[20:23], 0 offen lds               // 000000009A80: E0511000 80050031
	s_add_u32 m0, 0x400, s48                                   // 000000009A88: 807C30FF 00000400
	v_mfma_f32_16x16x32_fp8_fp8 v[68:71], a[134:135], a[54:55], v[68:71]// 000000009A90: D3F30044 1D126D86
	v_mfma_f32_16x16x32_fp8_fp8 v[84:87], a[136:137], a[48:49], v[84:87]// 000000009A98: D3F30054 1D526188
	buffer_load_dword v50, s[20:23], 0 offen lds               // 000000009AA0: E0511000 80050032
	s_add_u32 m0, 0x500, s48                                   // 000000009AA8: 807C30FF 00000500
	v_mfma_f32_16x16x32_fp8_fp8 v[84:87], a[138:139], a[50:51], v[84:87]// 000000009AB0: D3F30054 1D52658A
	v_mfma_f32_16x16x32_fp8_fp8 v[84:87], a[140:141], a[52:53], v[84:87]// 000000009AB8: D3F30054 1D52698C
	buffer_load_dword v51, s[20:23], 0 offen lds               // 000000009AC0: E0511000 80050033
	s_add_u32 m0, 0x600, s48                                   // 000000009AC8: 807C30FF 00000600
	v_mfma_f32_16x16x32_fp8_fp8 v[84:87], a[142:143], a[54:55], v[84:87]// 000000009AD0: D3F30054 1D526D8E
	v_mfma_f32_16x16x32_fp8_fp8 v[100:103], a[144:145], a[48:49], v[100:103]// 000000009AD8: D3F30064 1D926190
	buffer_load_dword v52, s[20:23], 0 offen lds               // 000000009AE0: E0511000 80050034
	s_add_u32 m0, 0x700, s48                                   // 000000009AE8: 807C30FF 00000700
	v_mfma_f32_16x16x32_fp8_fp8 v[100:103], a[146:147], a[50:51], v[100:103]// 000000009AF0: D3F30064 1D926592
	v_mfma_f32_16x16x32_fp8_fp8 v[100:103], a[148:149], a[52:53], v[100:103]// 000000009AF8: D3F30064 1D926994
	buffer_load_dword v53, s[20:23], 0 offen lds               // 000000009B00: E0511000 80050035
	s_add_u32 m0, 0, s49                                       // 000000009B08: 807C3180
	v_mfma_f32_16x16x32_fp8_fp8 v[100:103], a[150:151], a[54:55], v[100:103]// 000000009B0C: D3F30064 1D926D96
	v_mfma_f32_16x16x32_fp8_fp8 v[116:119], a[152:153], a[48:49], v[116:119]// 000000009B14: D3F30074 1DD26198
	v_mfma_f32_16x16x32_fp8_fp8 v[116:119], a[154:155], a[50:51], v[116:119]// 000000009B1C: D3F30074 1DD2659A
	v_mfma_f32_16x16x32_fp8_fp8 v[116:119], a[156:157], a[52:53], v[116:119]// 000000009B24: D3F30074 1DD2699C
	v_mfma_f32_16x16x32_fp8_fp8 v[116:119], a[158:159], a[54:55], v[116:119]// 000000009B2C: D3F30074 1DD26D9E
	v_mfma_f32_16x16x32_fp8_fp8 v[72:75], a[128:129], a[56:57], v[72:75]// 000000009B34: D3F30048 1D227180
	v_mfma_f32_16x16x32_fp8_fp8 v[72:75], a[130:131], a[58:59], v[72:75]// 000000009B3C: D3F30048 1D227582
	v_mfma_f32_16x16x32_fp8_fp8 v[72:75], a[132:133], a[60:61], v[72:75]// 000000009B44: D3F30048 1D227984
	v_mfma_f32_16x16x32_fp8_fp8 v[72:75], a[134:135], a[62:63], v[72:75]// 000000009B4C: D3F30048 1D227D86
	v_mfma_f32_16x16x32_fp8_fp8 v[88:91], a[136:137], a[56:57], v[88:91]// 000000009B54: D3F30058 1D627188
	v_mfma_f32_16x16x32_fp8_fp8 v[88:91], a[138:139], a[58:59], v[88:91]// 000000009B5C: D3F30058 1D62758A
	v_mfma_f32_16x16x32_fp8_fp8 v[88:91], a[140:141], a[60:61], v[88:91]// 000000009B64: D3F30058 1D62798C
	v_mfma_f32_16x16x32_fp8_fp8 v[88:91], a[142:143], a[62:63], v[88:91]// 000000009B6C: D3F30058 1D627D8E
	v_mfma_f32_16x16x32_fp8_fp8 v[104:107], a[144:145], a[56:57], v[104:107]// 000000009B74: D3F30068 1DA27190
	v_mfma_f32_16x16x32_fp8_fp8 v[104:107], a[146:147], a[58:59], v[104:107]// 000000009B7C: D3F30068 1DA27592
	v_mfma_f32_16x16x32_fp8_fp8 v[104:107], a[148:149], a[60:61], v[104:107]// 000000009B84: D3F30068 1DA27994
	v_mfma_f32_16x16x32_fp8_fp8 v[104:107], a[150:151], a[62:63], v[104:107]// 000000009B8C: D3F30068 1DA27D96
	v_mfma_f32_16x16x32_fp8_fp8 v[120:123], a[152:153], a[56:57], v[120:123]// 000000009B94: D3F30078 1DE27198
	v_mfma_f32_16x16x32_fp8_fp8 v[120:123], a[154:155], a[58:59], v[120:123]// 000000009B9C: D3F30078 1DE2759A
	v_mfma_f32_16x16x32_fp8_fp8 v[120:123], a[156:157], a[60:61], v[120:123]// 000000009BA4: D3F30078 1DE2799C
	v_mfma_f32_16x16x32_fp8_fp8 v[120:123], a[158:159], a[62:63], v[120:123]// 000000009BAC: D3F30078 1DE27D9E
	s_waitcnt vmcnt(16)                                        // 000000009BB4: BF8C4F70
	s_barrier                                                  // 000000009BB8: BF8A0000
	v_mfma_f32_16x16x32_fp8_fp8 v[124:127], a[64:65], a[32:33], v[124:127]// 000000009BBC: D3F3007C 1DF24140
	buffer_load_dwordx4 a[128:131], v54, s[84:87], 0 offen     // 000000009BC4: E05C1000 80958036
	v_mfma_f32_16x16x32_fp8_fp8 v[124:127], a[66:67], a[34:35], v[124:127]// 000000009BCC: D3F3007C 1DF24542
	v_mfma_f32_16x16x32_fp8_fp8 v[124:127], a[68:69], a[36:37], v[124:127]// 000000009BD4: D3F3007C 1DF24944
	ds_read_b128 a[0:3], v2 offset:16640                       // 000000009BDC: DBFE4100 00000002
	ds_read_b128 a[4:7], v2 offset:16704                       // 000000009BE4: DBFE4140 04000002
	v_mfma_f32_16x16x32_fp8_fp8 v[124:127], a[70:71], a[38:39], v[124:127]// 000000009BEC: D3F3007C 1DF24D46
	v_mfma_f32_16x16x32_fp8_fp8 v[140:143], a[72:73], a[32:33], v[140:143]// 000000009BF4: D3F3008C 1E324148
	buffer_load_dwordx4 a[132:135], v54, s[84:87], 0 offen offset:1024// 000000009BFC: E05C1400 80958436
	v_mfma_f32_16x16x32_fp8_fp8 v[140:143], a[74:75], a[34:35], v[140:143]// 000000009C04: D3F3008C 1E32454A
	v_mfma_f32_16x16x32_fp8_fp8 v[140:143], a[76:77], a[36:37], v[140:143]// 000000009C0C: D3F3008C 1E32494C
	ds_read_b128 a[8:11], v2 offset:17152                      // 000000009C14: DBFE4300 08000002
	ds_read_b128 a[12:15], v2 offset:17216                     // 000000009C1C: DBFE4340 0C000002
	v_mfma_f32_16x16x32_fp8_fp8 v[140:143], a[78:79], a[38:39], v[140:143]// 000000009C24: D3F3008C 1E324D4E
	v_mfma_f32_16x16x32_fp8_fp8 v[156:159], a[80:81], a[32:33], v[156:159]// 000000009C2C: D3F3009C 1E724150
	buffer_load_dwordx4 a[136:139], v55, s[84:87], 0 offen     // 000000009C34: E05C1000 80958837
	v_mfma_f32_16x16x32_fp8_fp8 v[156:159], a[82:83], a[34:35], v[156:159]// 000000009C3C: D3F3009C 1E724552
	v_mfma_f32_16x16x32_fp8_fp8 v[156:159], a[84:85], a[36:37], v[156:159]// 000000009C44: D3F3009C 1E724954
	ds_read_b128 a[16:19], v2 offset:17664                     // 000000009C4C: DBFE4500 10000002
	ds_read_b128 a[20:23], v2 offset:17728                     // 000000009C54: DBFE4540 14000002
	v_mfma_f32_16x16x32_fp8_fp8 v[156:159], a[86:87], a[38:39], v[156:159]// 000000009C5C: D3F3009C 1E724D56
	v_mfma_f32_16x16x32_fp8_fp8 v[172:175], a[88:89], a[32:33], v[172:175]// 000000009C64: D3F300AC 1EB24158
	buffer_load_dwordx4 a[140:143], v55, s[84:87], 0 offen offset:1024// 000000009C6C: E05C1400 80958C37
	v_mfma_f32_16x16x32_fp8_fp8 v[172:175], a[90:91], a[34:35], v[172:175]// 000000009C74: D3F300AC 1EB2455A
	v_mfma_f32_16x16x32_fp8_fp8 v[172:175], a[92:93], a[36:37], v[172:175]// 000000009C7C: D3F300AC 1EB2495C
	ds_read_b128 a[24:27], v2 offset:18176                     // 000000009C84: DBFE4700 18000002
	ds_read_b128 a[28:31], v2 offset:18240                     // 000000009C8C: DBFE4740 1C000002
	v_mfma_f32_16x16x32_fp8_fp8 v[172:175], a[94:95], a[38:39], v[172:175]// 000000009C94: D3F300AC 1EB24D5E
	v_mfma_f32_16x16x32_fp8_fp8 v[128:131], a[64:65], a[40:41], v[128:131]// 000000009C9C: D3F30080 1E025140
	buffer_load_dwordx4 a[144:147], v56, s[84:87], 0 offen     // 000000009CA4: E05C1000 80959038
	v_mfma_f32_16x16x32_fp8_fp8 v[128:131], a[66:67], a[42:43], v[128:131]// 000000009CAC: D3F30080 1E025542
	v_mfma_f32_16x16x32_fp8_fp8 v[128:131], a[68:69], a[44:45], v[128:131]// 000000009CB4: D3F30080 1E025944
	v_mfma_f32_16x16x32_fp8_fp8 v[128:131], a[70:71], a[46:47], v[128:131]// 000000009CBC: D3F30080 1E025D46
	v_mfma_f32_16x16x32_fp8_fp8 v[144:147], a[72:73], a[40:41], v[144:147]// 000000009CC4: D3F30090 1E425148
	buffer_load_dwordx4 a[148:151], v56, s[84:87], 0 offen offset:1024// 000000009CCC: E05C1400 80959438
	v_mfma_f32_16x16x32_fp8_fp8 v[144:147], a[74:75], a[42:43], v[144:147]// 000000009CD4: D3F30090 1E42554A
	v_mfma_f32_16x16x32_fp8_fp8 v[144:147], a[76:77], a[44:45], v[144:147]// 000000009CDC: D3F30090 1E42594C
	v_mfma_f32_16x16x32_fp8_fp8 v[144:147], a[78:79], a[46:47], v[144:147]// 000000009CE4: D3F30090 1E425D4E
	v_mfma_f32_16x16x32_fp8_fp8 v[160:163], a[80:81], a[40:41], v[160:163]// 000000009CEC: D3F300A0 1E825150
	buffer_load_dwordx4 a[152:155], v57, s[84:87], 0 offen     // 000000009CF4: E05C1000 80959839
	v_mfma_f32_16x16x32_fp8_fp8 v[160:163], a[82:83], a[42:43], v[160:163]// 000000009CFC: D3F300A0 1E825552
	v_mfma_f32_16x16x32_fp8_fp8 v[160:163], a[84:85], a[44:45], v[160:163]// 000000009D04: D3F300A0 1E825954
	v_mfma_f32_16x16x32_fp8_fp8 v[160:163], a[86:87], a[46:47], v[160:163]// 000000009D0C: D3F300A0 1E825D56
	v_mfma_f32_16x16x32_fp8_fp8 v[176:179], a[88:89], a[40:41], v[176:179]// 000000009D14: D3F300B0 1EC25158
	buffer_load_dwordx4 a[156:159], v57, s[84:87], 0 offen offset:1024// 000000009D1C: E05C1400 80959C39
	v_mfma_f32_16x16x32_fp8_fp8 v[176:179], a[90:91], a[42:43], v[176:179]// 000000009D24: D3F300B0 1EC2555A
	v_mfma_f32_16x16x32_fp8_fp8 v[176:179], a[92:93], a[44:45], v[176:179]// 000000009D2C: D3F300B0 1EC2595C
	v_mfma_f32_16x16x32_fp8_fp8 v[176:179], a[94:95], a[46:47], v[176:179]// 000000009D34: D3F300B0 1EC25D5E
	v_mfma_f32_16x16x32_fp8_fp8 v[132:135], a[64:65], a[48:49], v[132:135]// 000000009D3C: D3F30084 1E126140
	v_mfma_f32_16x16x32_fp8_fp8 v[132:135], a[66:67], a[50:51], v[132:135]// 000000009D44: D3F30084 1E126542
	v_mfma_f32_16x16x32_fp8_fp8 v[132:135], a[68:69], a[52:53], v[132:135]// 000000009D4C: D3F30084 1E126944
	v_mfma_f32_16x16x32_fp8_fp8 v[132:135], a[70:71], a[54:55], v[132:135]// 000000009D54: D3F30084 1E126D46
	v_mfma_f32_16x16x32_fp8_fp8 v[148:151], a[72:73], a[48:49], v[148:151]// 000000009D5C: D3F30094 1E526148
	v_mfma_f32_16x16x32_fp8_fp8 v[148:151], a[74:75], a[50:51], v[148:151]// 000000009D64: D3F30094 1E52654A
	v_mfma_f32_16x16x32_fp8_fp8 v[148:151], a[76:77], a[52:53], v[148:151]// 000000009D6C: D3F30094 1E52694C
	v_mfma_f32_16x16x32_fp8_fp8 v[148:151], a[78:79], a[54:55], v[148:151]// 000000009D74: D3F30094 1E526D4E
	v_mfma_f32_16x16x32_fp8_fp8 v[164:167], a[80:81], a[48:49], v[164:167]// 000000009D7C: D3F300A4 1E926150
	v_mfma_f32_16x16x32_fp8_fp8 v[164:167], a[82:83], a[50:51], v[164:167]// 000000009D84: D3F300A4 1E926552
	v_mfma_f32_16x16x32_fp8_fp8 v[164:167], a[84:85], a[52:53], v[164:167]// 000000009D8C: D3F300A4 1E926954
	v_mfma_f32_16x16x32_fp8_fp8 v[164:167], a[86:87], a[54:55], v[164:167]// 000000009D94: D3F300A4 1E926D56
	v_mfma_f32_16x16x32_fp8_fp8 v[180:183], a[88:89], a[48:49], v[180:183]// 000000009D9C: D3F300B4 1ED26158
	v_mfma_f32_16x16x32_fp8_fp8 v[180:183], a[90:91], a[50:51], v[180:183]// 000000009DA4: D3F300B4 1ED2655A
	v_mfma_f32_16x16x32_fp8_fp8 v[180:183], a[92:93], a[52:53], v[180:183]// 000000009DAC: D3F300B4 1ED2695C
	v_mfma_f32_16x16x32_fp8_fp8 v[180:183], a[94:95], a[54:55], v[180:183]// 000000009DB4: D3F300B4 1ED26D5E
	v_mfma_f32_16x16x32_fp8_fp8 v[136:139], a[64:65], a[56:57], v[136:139]// 000000009DBC: D3F30088 1E227140
	v_mfma_f32_16x16x32_fp8_fp8 v[136:139], a[66:67], a[58:59], v[136:139]// 000000009DC4: D3F30088 1E227542
	v_mfma_f32_16x16x32_fp8_fp8 v[136:139], a[68:69], a[60:61], v[136:139]// 000000009DCC: D3F30088 1E227944
	v_mfma_f32_16x16x32_fp8_fp8 v[136:139], a[70:71], a[62:63], v[136:139]// 000000009DD4: D3F30088 1E227D46
	v_mfma_f32_16x16x32_fp8_fp8 v[152:155], a[72:73], a[56:57], v[152:155]// 000000009DDC: D3F30098 1E627148
	v_mfma_f32_16x16x32_fp8_fp8 v[152:155], a[74:75], a[58:59], v[152:155]// 000000009DE4: D3F30098 1E62754A
	v_mfma_f32_16x16x32_fp8_fp8 v[152:155], a[76:77], a[60:61], v[152:155]// 000000009DEC: D3F30098 1E62794C
	v_mfma_f32_16x16x32_fp8_fp8 v[152:155], a[78:79], a[62:63], v[152:155]// 000000009DF4: D3F30098 1E627D4E
	v_mfma_f32_16x16x32_fp8_fp8 v[168:171], a[80:81], a[56:57], v[168:171]// 000000009DFC: D3F300A8 1EA27150
	s_add_u32 s60, 0x180, s80                                  // 000000009E04: 803C50FF 00000180
	s_cmp_lt_u32 s60, s81                                      // 000000009E0C: BF0A513C
	s_cselect_b32 s57, s57, 0                                  // 000000009E10: 85398039
	v_mfma_f32_16x16x32_fp8_fp8 v[168:171], a[82:83], a[58:59], v[168:171]// 000000009E14: D3F300A8 1EA27552
	s_add_u32 s60, 0x100, s80                                  // 000000009E1C: 803C50FF 00000100
	s_cmp_lt_u32 s60, s81                                      // 000000009E24: BF0A513C
	s_cselect_b32 s58, s58, 0                                  // 000000009E28: 853A803A
	v_mfma_f32_16x16x32_fp8_fp8 v[168:171], a[84:85], a[60:61], v[168:171]// 000000009E2C: D3F300A8 1EA27954
	s_add_u32 s60, 0x100, s80                                  // 000000009E34: 803C50FF 00000100
	s_cmp_lt_u32 s60, s81                                      // 000000009E3C: BF0A513C
	s_cselect_b32 s83, s83, 0                                  // 000000009E40: 85538053
	v_mfma_f32_16x16x32_fp8_fp8 v[168:171], a[86:87], a[62:63], v[168:171]// 000000009E44: D3F300A8 1EA27D56
	s_add_u32 s24, s58, s24                                    // 000000009E4C: 8018183A
	s_addc_u32 s25, 0, s25                                     // 000000009E50: 82191980
	v_mfma_f32_16x16x32_fp8_fp8 v[184:187], a[88:89], a[56:57], v[184:187]// 000000009E54: D3F300B8 1EE27158
	s_add_u32 s20, s57, s20                                    // 000000009E5C: 80141439
	s_addc_u32 s21, 0, s21                                     // 000000009E60: 82151580
	v_mfma_f32_16x16x32_fp8_fp8 v[184:187], a[90:91], a[58:59], v[184:187]// 000000009E64: D3F300B8 1EE2755A
	s_add_u32 s84, s83, s84                                    // 000000009E6C: 80545453
	s_addc_u32 s85, 0, s85                                     // 000000009E70: 82555580
	v_mfma_f32_16x16x32_fp8_fp8 v[184:187], a[92:93], a[60:61], v[184:187]// 000000009E74: D3F300B8 1EE2795C
	v_mfma_f32_16x16x32_fp8_fp8 v[184:187], a[94:95], a[62:63], v[184:187]// 000000009E7C: D3F300B8 1EE27D5E
	s_addk_i32 s80, 0x80                                       // 000000009E84: B7500080
	s_cmp_lt_i32 s80, s81                                      // 000000009E88: BF045150
	s_cbranch_scc0 label_22C4                                  // 000000009E8C: BF84059D
	s_waitcnt vmcnt(16) lgkmcnt(0)                             // 000000009E90: BF8C4070
	v_mfma_f32_16x16x32_fp8_fp8 v[60:63], a[96:97], a[0:1], v[60:63]// 000000009E94: D3F3003C 1CF20160
	buffer_load_dwordx4 a[64:67], v54, s[24:27], 0 offen       // 000000009E9C: E05C1000 80864036
	v_mfma_f32_16x16x32_fp8_fp8 v[60:63], a[98:99], a[2:3], v[60:63]// 000000009EA4: D3F3003C 1CF20562
	v_mfma_f32_16x16x32_fp8_fp8 v[60:63], a[100:101], a[4:5], v[60:63]// 000000009EAC: D3F3003C 1CF20964
	v_mfma_f32_16x16x32_fp8_fp8 v[60:63], a[102:103], a[6:7], v[60:63]// 000000009EB4: D3F3003C 1CF20D66
	v_mfma_f32_16x16x32_fp8_fp8 v[76:79], a[104:105], a[0:1], v[76:79]// 000000009EBC: D3F3004C 1D320168
	buffer_load_dwordx4 a[68:71], v54, s[24:27], 0 offen offset:1024// 000000009EC4: E05C1400 80864436
	v_mfma_f32_16x16x32_fp8_fp8 v[76:79], a[106:107], a[2:3], v[76:79]// 000000009ECC: D3F3004C 1D32056A
	v_mfma_f32_16x16x32_fp8_fp8 v[76:79], a[108:109], a[4:5], v[76:79]// 000000009ED4: D3F3004C 1D32096C
	v_mfma_f32_16x16x32_fp8_fp8 v[76:79], a[110:111], a[6:7], v[76:79]// 000000009EDC: D3F3004C 1D320D6E
	v_mfma_f32_16x16x32_fp8_fp8 v[92:95], a[112:113], a[0:1], v[92:95]// 000000009EE4: D3F3005C 1D720170
	buffer_load_dwordx4 a[72:75], v55, s[24:27], 0 offen       // 000000009EEC: E05C1000 80864837
	v_mfma_f32_16x16x32_fp8_fp8 v[92:95], a[114:115], a[2:3], v[92:95]// 000000009EF4: D3F3005C 1D720572
	v_mfma_f32_16x16x32_fp8_fp8 v[92:95], a[116:117], a[4:5], v[92:95]// 000000009EFC: D3F3005C 1D720974
	v_mfma_f32_16x16x32_fp8_fp8 v[92:95], a[118:119], a[6:7], v[92:95]// 000000009F04: D3F3005C 1D720D76
	v_mfma_f32_16x16x32_fp8_fp8 v[108:111], a[120:121], a[0:1], v[108:111]// 000000009F0C: D3F3006C 1DB20178
	buffer_load_dwordx4 a[76:79], v55, s[24:27], 0 offen offset:1024// 000000009F14: E05C1400 80864C37
	v_mfma_f32_16x16x32_fp8_fp8 v[108:111], a[122:123], a[2:3], v[108:111]// 000000009F1C: D3F3006C 1DB2057A
	v_mfma_f32_16x16x32_fp8_fp8 v[108:111], a[124:125], a[4:5], v[108:111]// 000000009F24: D3F3006C 1DB2097C
	v_mfma_f32_16x16x32_fp8_fp8 v[108:111], a[126:127], a[6:7], v[108:111]// 000000009F2C: D3F3006C 1DB20D7E
	v_mfma_f32_16x16x32_fp8_fp8 v[64:67], a[96:97], a[8:9], v[64:67]// 000000009F34: D3F30040 1D021160
	buffer_load_dwordx4 a[80:83], v56, s[24:27], 0 offen       // 000000009F3C: E05C1000 80865038
	v_mfma_f32_16x16x32_fp8_fp8 v[64:67], a[98:99], a[10:11], v[64:67]// 000000009F44: D3F30040 1D021562
	v_mfma_f32_16x16x32_fp8_fp8 v[64:67], a[100:101], a[12:13], v[64:67]// 000000009F4C: D3F30040 1D021964
	v_mfma_f32_16x16x32_fp8_fp8 v[64:67], a[102:103], a[14:15], v[64:67]// 000000009F54: D3F30040 1D021D66
	v_mfma_f32_16x16x32_fp8_fp8 v[80:83], a[104:105], a[8:9], v[80:83]// 000000009F5C: D3F30050 1D421168
	buffer_load_dwordx4 a[84:87], v56, s[24:27], 0 offen offset:1024// 000000009F64: E05C1400 80865438
	v_mfma_f32_16x16x32_fp8_fp8 v[80:83], a[106:107], a[10:11], v[80:83]// 000000009F6C: D3F30050 1D42156A
	v_mfma_f32_16x16x32_fp8_fp8 v[80:83], a[108:109], a[12:13], v[80:83]// 000000009F74: D3F30050 1D42196C
	v_mfma_f32_16x16x32_fp8_fp8 v[80:83], a[110:111], a[14:15], v[80:83]// 000000009F7C: D3F30050 1D421D6E
	v_mfma_f32_16x16x32_fp8_fp8 v[96:99], a[112:113], a[8:9], v[96:99]// 000000009F84: D3F30060 1D821170
	buffer_load_dwordx4 a[88:91], v57, s[24:27], 0 offen       // 000000009F8C: E05C1000 80865839
	v_mfma_f32_16x16x32_fp8_fp8 v[96:99], a[114:115], a[10:11], v[96:99]// 000000009F94: D3F30060 1D821572
	v_mfma_f32_16x16x32_fp8_fp8 v[96:99], a[116:117], a[12:13], v[96:99]// 000000009F9C: D3F30060 1D821974
	v_mfma_f32_16x16x32_fp8_fp8 v[96:99], a[118:119], a[14:15], v[96:99]// 000000009FA4: D3F30060 1D821D76
	v_mfma_f32_16x16x32_fp8_fp8 v[112:115], a[120:121], a[8:9], v[112:115]// 000000009FAC: D3F30070 1DC21178
	buffer_load_dwordx4 a[92:95], v57, s[24:27], 0 offen offset:1024// 000000009FB4: E05C1400 80865C39
	buffer_load_dword v46, s[20:23], 0 offen lds               // 000000009FBC: E0511000 8005002E
	s_add_u32 m0, 0x100, s49                                   // 000000009FC4: 807C31FF 00000100
	v_mfma_f32_16x16x32_fp8_fp8 v[112:115], a[122:123], a[10:11], v[112:115]// 000000009FCC: D3F30070 1DC2157A
	v_mfma_f32_16x16x32_fp8_fp8 v[112:115], a[124:125], a[12:13], v[112:115]// 000000009FD4: D3F30070 1DC2197C
	buffer_load_dword v47, s[20:23], 0 offen lds               // 000000009FDC: E0511000 8005002F
	s_add_u32 m0, 0x200, s49                                   // 000000009FE4: 807C31FF 00000200
	v_mfma_f32_16x16x32_fp8_fp8 v[112:115], a[126:127], a[14:15], v[112:115]// 000000009FEC: D3F30070 1DC21D7E
	v_mfma_f32_16x16x32_fp8_fp8 v[68:71], a[96:97], a[16:17], v[68:71]// 000000009FF4: D3F30044 1D122160
	buffer_load_dword v48, s[20:23], 0 offen lds               // 000000009FFC: E0511000 80050030
	s_add_u32 m0, 0x300, s49                                   // 00000000A004: 807C31FF 00000300
	v_mfma_f32_16x16x32_fp8_fp8 v[68:71], a[98:99], a[18:19], v[68:71]// 00000000A00C: D3F30044 1D122562
	v_mfma_f32_16x16x32_fp8_fp8 v[68:71], a[100:101], a[20:21], v[68:71]// 00000000A014: D3F30044 1D122964
	buffer_load_dword v49, s[20:23], 0 offen lds               // 00000000A01C: E0511000 80050031
	s_add_u32 m0, 0x400, s49                                   // 00000000A024: 807C31FF 00000400
	v_mfma_f32_16x16x32_fp8_fp8 v[68:71], a[102:103], a[22:23], v[68:71]// 00000000A02C: D3F30044 1D122D66
	v_mfma_f32_16x16x32_fp8_fp8 v[84:87], a[104:105], a[16:17], v[84:87]// 00000000A034: D3F30054 1D522168
	buffer_load_dword v50, s[20:23], 0 offen lds               // 00000000A03C: E0511000 80050032
	s_add_u32 m0, 0x500, s49                                   // 00000000A044: 807C31FF 00000500
	v_mfma_f32_16x16x32_fp8_fp8 v[84:87], a[106:107], a[18:19], v[84:87]// 00000000A04C: D3F30054 1D52256A
	v_mfma_f32_16x16x32_fp8_fp8 v[84:87], a[108:109], a[20:21], v[84:87]// 00000000A054: D3F30054 1D52296C
	buffer_load_dword v51, s[20:23], 0 offen lds               // 00000000A05C: E0511000 80050033
	s_add_u32 m0, 0x600, s49                                   // 00000000A064: 807C31FF 00000600
	v_mfma_f32_16x16x32_fp8_fp8 v[84:87], a[110:111], a[22:23], v[84:87]// 00000000A06C: D3F30054 1D522D6E
	v_mfma_f32_16x16x32_fp8_fp8 v[100:103], a[112:113], a[16:17], v[100:103]// 00000000A074: D3F30064 1D922170
	buffer_load_dword v52, s[20:23], 0 offen lds               // 00000000A07C: E0511000 80050034
	s_add_u32 m0, 0x700, s49                                   // 00000000A084: 807C31FF 00000700
	v_mfma_f32_16x16x32_fp8_fp8 v[100:103], a[114:115], a[18:19], v[100:103]// 00000000A08C: D3F30064 1D922572
	v_mfma_f32_16x16x32_fp8_fp8 v[100:103], a[116:117], a[20:21], v[100:103]// 00000000A094: D3F30064 1D922974
	buffer_load_dword v53, s[20:23], 0 offen lds               // 00000000A09C: E0511000 80050035
	s_add_u32 m0, 0, s50                                       // 00000000A0A4: 807C3280
	v_mfma_f32_16x16x32_fp8_fp8 v[100:103], a[118:119], a[22:23], v[100:103]// 00000000A0A8: D3F30064 1D922D76
	v_mfma_f32_16x16x32_fp8_fp8 v[116:119], a[120:121], a[16:17], v[116:119]// 00000000A0B0: D3F30074 1DD22178
	v_mfma_f32_16x16x32_fp8_fp8 v[116:119], a[122:123], a[18:19], v[116:119]// 00000000A0B8: D3F30074 1DD2257A
	v_mfma_f32_16x16x32_fp8_fp8 v[116:119], a[124:125], a[20:21], v[116:119]// 00000000A0C0: D3F30074 1DD2297C
	v_mfma_f32_16x16x32_fp8_fp8 v[116:119], a[126:127], a[22:23], v[116:119]// 00000000A0C8: D3F30074 1DD22D7E
	v_mfma_f32_16x16x32_fp8_fp8 v[72:75], a[96:97], a[24:25], v[72:75]// 00000000A0D0: D3F30048 1D223160
	v_mfma_f32_16x16x32_fp8_fp8 v[72:75], a[98:99], a[26:27], v[72:75]// 00000000A0D8: D3F30048 1D223562
	v_mfma_f32_16x16x32_fp8_fp8 v[72:75], a[100:101], a[28:29], v[72:75]// 00000000A0E0: D3F30048 1D223964
	v_mfma_f32_16x16x32_fp8_fp8 v[72:75], a[102:103], a[30:31], v[72:75]// 00000000A0E8: D3F30048 1D223D66
	v_mfma_f32_16x16x32_fp8_fp8 v[88:91], a[104:105], a[24:25], v[88:91]// 00000000A0F0: D3F30058 1D623168
	v_mfma_f32_16x16x32_fp8_fp8 v[88:91], a[106:107], a[26:27], v[88:91]// 00000000A0F8: D3F30058 1D62356A
	v_mfma_f32_16x16x32_fp8_fp8 v[88:91], a[108:109], a[28:29], v[88:91]// 00000000A100: D3F30058 1D62396C
	v_mfma_f32_16x16x32_fp8_fp8 v[88:91], a[110:111], a[30:31], v[88:91]// 00000000A108: D3F30058 1D623D6E
	v_mfma_f32_16x16x32_fp8_fp8 v[104:107], a[112:113], a[24:25], v[104:107]// 00000000A110: D3F30068 1DA23170
	v_mfma_f32_16x16x32_fp8_fp8 v[104:107], a[114:115], a[26:27], v[104:107]// 00000000A118: D3F30068 1DA23572
	v_mfma_f32_16x16x32_fp8_fp8 v[104:107], a[116:117], a[28:29], v[104:107]// 00000000A120: D3F30068 1DA23974
	v_mfma_f32_16x16x32_fp8_fp8 v[104:107], a[118:119], a[30:31], v[104:107]// 00000000A128: D3F30068 1DA23D76
	v_mfma_f32_16x16x32_fp8_fp8 v[120:123], a[120:121], a[24:25], v[120:123]// 00000000A130: D3F30078 1DE23178
	v_mfma_f32_16x16x32_fp8_fp8 v[120:123], a[122:123], a[26:27], v[120:123]// 00000000A138: D3F30078 1DE2357A
	v_mfma_f32_16x16x32_fp8_fp8 v[120:123], a[124:125], a[28:29], v[120:123]// 00000000A140: D3F30078 1DE2397C
	v_mfma_f32_16x16x32_fp8_fp8 v[120:123], a[126:127], a[30:31], v[120:123]// 00000000A148: D3F30078 1DE23D7E
	s_waitcnt vmcnt(16)                                        // 00000000A150: BF8C4F70
	s_barrier                                                  // 00000000A154: BF8A0000
	v_mfma_f32_16x16x32_fp8_fp8 v[124:127], a[128:129], a[0:1], v[124:127]// 00000000A158: D3F3007C 1DF20180
	buffer_load_dwordx4 a[96:99], v54, s[84:87], 0 offen       // 00000000A160: E05C1000 80956036
	v_mfma_f32_16x16x32_fp8_fp8 v[124:127], a[130:131], a[2:3], v[124:127]// 00000000A168: D3F3007C 1DF20582
	v_mfma_f32_16x16x32_fp8_fp8 v[124:127], a[132:133], a[4:5], v[124:127]// 00000000A170: D3F3007C 1DF20984
	ds_read_b128 a[32:35], v2                                  // 00000000A178: DBFE0000 20000002
	ds_read_b128 a[36:39], v2 offset:64                        // 00000000A180: DBFE0040 24000002
	v_mfma_f32_16x16x32_fp8_fp8 v[124:127], a[134:135], a[6:7], v[124:127]// 00000000A188: D3F3007C 1DF20D86
	v_mfma_f32_16x16x32_fp8_fp8 v[140:143], a[136:137], a[0:1], v[140:143]// 00000000A190: D3F3008C 1E320188
	buffer_load_dwordx4 a[100:103], v54, s[84:87], 0 offen offset:1024// 00000000A198: E05C1400 80956436
	v_mfma_f32_16x16x32_fp8_fp8 v[140:143], a[138:139], a[2:3], v[140:143]// 00000000A1A0: D3F3008C 1E32058A
	v_mfma_f32_16x16x32_fp8_fp8 v[140:143], a[140:141], a[4:5], v[140:143]// 00000000A1A8: D3F3008C 1E32098C
	ds_read_b128 a[40:43], v2 offset:512                       // 00000000A1B0: DBFE0200 28000002
	ds_read_b128 a[44:47], v2 offset:576                       // 00000000A1B8: DBFE0240 2C000002
	v_mfma_f32_16x16x32_fp8_fp8 v[140:143], a[142:143], a[6:7], v[140:143]// 00000000A1C0: D3F3008C 1E320D8E
	v_mfma_f32_16x16x32_fp8_fp8 v[156:159], a[144:145], a[0:1], v[156:159]// 00000000A1C8: D3F3009C 1E720190
	buffer_load_dwordx4 a[104:107], v55, s[84:87], 0 offen     // 00000000A1D0: E05C1000 80956837
	v_mfma_f32_16x16x32_fp8_fp8 v[156:159], a[146:147], a[2:3], v[156:159]// 00000000A1D8: D3F3009C 1E720592
	v_mfma_f32_16x16x32_fp8_fp8 v[156:159], a[148:149], a[4:5], v[156:159]// 00000000A1E0: D3F3009C 1E720994
	ds_read_b128 a[48:51], v2 offset:1024                      // 00000000A1E8: DBFE0400 30000002
	ds_read_b128 a[52:55], v2 offset:1088                      // 00000000A1F0: DBFE0440 34000002
	v_mfma_f32_16x16x32_fp8_fp8 v[156:159], a[150:151], a[6:7], v[156:159]// 00000000A1F8: D3F3009C 1E720D96
	v_mfma_f32_16x16x32_fp8_fp8 v[172:175], a[152:153], a[0:1], v[172:175]// 00000000A200: D3F300AC 1EB20198
	buffer_load_dwordx4 a[108:111], v55, s[84:87], 0 offen offset:1024// 00000000A208: E05C1400 80956C37
	v_mfma_f32_16x16x32_fp8_fp8 v[172:175], a[154:155], a[2:3], v[172:175]// 00000000A210: D3F300AC 1EB2059A
	v_mfma_f32_16x16x32_fp8_fp8 v[172:175], a[156:157], a[4:5], v[172:175]// 00000000A218: D3F300AC 1EB2099C
	ds_read_b128 a[56:59], v2 offset:1536                      // 00000000A220: DBFE0600 38000002
	ds_read_b128 a[60:63], v2 offset:1600                      // 00000000A228: DBFE0640 3C000002
	v_mfma_f32_16x16x32_fp8_fp8 v[172:175], a[158:159], a[6:7], v[172:175]// 00000000A230: D3F300AC 1EB20D9E
	v_mfma_f32_16x16x32_fp8_fp8 v[128:131], a[128:129], a[8:9], v[128:131]// 00000000A238: D3F30080 1E021180
	buffer_load_dwordx4 a[112:115], v56, s[84:87], 0 offen     // 00000000A240: E05C1000 80957038
	v_mfma_f32_16x16x32_fp8_fp8 v[128:131], a[130:131], a[10:11], v[128:131]// 00000000A248: D3F30080 1E021582
	v_mfma_f32_16x16x32_fp8_fp8 v[128:131], a[132:133], a[12:13], v[128:131]// 00000000A250: D3F30080 1E021984
	v_mfma_f32_16x16x32_fp8_fp8 v[128:131], a[134:135], a[14:15], v[128:131]// 00000000A258: D3F30080 1E021D86
	v_mfma_f32_16x16x32_fp8_fp8 v[144:147], a[136:137], a[8:9], v[144:147]// 00000000A260: D3F30090 1E421188
	buffer_load_dwordx4 a[116:119], v56, s[84:87], 0 offen offset:1024// 00000000A268: E05C1400 80957438
	v_mfma_f32_16x16x32_fp8_fp8 v[144:147], a[138:139], a[10:11], v[144:147]// 00000000A270: D3F30090 1E42158A
	v_mfma_f32_16x16x32_fp8_fp8 v[144:147], a[140:141], a[12:13], v[144:147]// 00000000A278: D3F30090 1E42198C
	v_mfma_f32_16x16x32_fp8_fp8 v[144:147], a[142:143], a[14:15], v[144:147]// 00000000A280: D3F30090 1E421D8E
	v_mfma_f32_16x16x32_fp8_fp8 v[160:163], a[144:145], a[8:9], v[160:163]// 00000000A288: D3F300A0 1E821190
	buffer_load_dwordx4 a[120:123], v57, s[84:87], 0 offen     // 00000000A290: E05C1000 80957839
	v_mfma_f32_16x16x32_fp8_fp8 v[160:163], a[146:147], a[10:11], v[160:163]// 00000000A298: D3F300A0 1E821592
	v_mfma_f32_16x16x32_fp8_fp8 v[160:163], a[148:149], a[12:13], v[160:163]// 00000000A2A0: D3F300A0 1E821994
	v_mfma_f32_16x16x32_fp8_fp8 v[160:163], a[150:151], a[14:15], v[160:163]// 00000000A2A8: D3F300A0 1E821D96
	v_mfma_f32_16x16x32_fp8_fp8 v[176:179], a[152:153], a[8:9], v[176:179]// 00000000A2B0: D3F300B0 1EC21198
	buffer_load_dwordx4 a[124:127], v57, s[84:87], 0 offen offset:1024// 00000000A2B8: E05C1400 80957C39
	v_mfma_f32_16x16x32_fp8_fp8 v[176:179], a[154:155], a[10:11], v[176:179]// 00000000A2C0: D3F300B0 1EC2159A
	v_mfma_f32_16x16x32_fp8_fp8 v[176:179], a[156:157], a[12:13], v[176:179]// 00000000A2C8: D3F300B0 1EC2199C
	v_mfma_f32_16x16x32_fp8_fp8 v[176:179], a[158:159], a[14:15], v[176:179]// 00000000A2D0: D3F300B0 1EC21D9E
	v_mfma_f32_16x16x32_fp8_fp8 v[132:135], a[128:129], a[16:17], v[132:135]// 00000000A2D8: D3F30084 1E122180
	v_mfma_f32_16x16x32_fp8_fp8 v[132:135], a[130:131], a[18:19], v[132:135]// 00000000A2E0: D3F30084 1E122582
	v_mfma_f32_16x16x32_fp8_fp8 v[132:135], a[132:133], a[20:21], v[132:135]// 00000000A2E8: D3F30084 1E122984
	v_mfma_f32_16x16x32_fp8_fp8 v[132:135], a[134:135], a[22:23], v[132:135]// 00000000A2F0: D3F30084 1E122D86
	v_mfma_f32_16x16x32_fp8_fp8 v[148:151], a[136:137], a[16:17], v[148:151]// 00000000A2F8: D3F30094 1E522188
	v_mfma_f32_16x16x32_fp8_fp8 v[148:151], a[138:139], a[18:19], v[148:151]// 00000000A300: D3F30094 1E52258A
	v_mfma_f32_16x16x32_fp8_fp8 v[148:151], a[140:141], a[20:21], v[148:151]// 00000000A308: D3F30094 1E52298C
	v_mfma_f32_16x16x32_fp8_fp8 v[148:151], a[142:143], a[22:23], v[148:151]// 00000000A310: D3F30094 1E522D8E
	v_mfma_f32_16x16x32_fp8_fp8 v[164:167], a[144:145], a[16:17], v[164:167]// 00000000A318: D3F300A4 1E922190
	v_mfma_f32_16x16x32_fp8_fp8 v[164:167], a[146:147], a[18:19], v[164:167]// 00000000A320: D3F300A4 1E922592
	v_mfma_f32_16x16x32_fp8_fp8 v[164:167], a[148:149], a[20:21], v[164:167]// 00000000A328: D3F300A4 1E922994
	v_mfma_f32_16x16x32_fp8_fp8 v[164:167], a[150:151], a[22:23], v[164:167]// 00000000A330: D3F300A4 1E922D96
	v_mfma_f32_16x16x32_fp8_fp8 v[180:183], a[152:153], a[16:17], v[180:183]// 00000000A338: D3F300B4 1ED22198
	v_mfma_f32_16x16x32_fp8_fp8 v[180:183], a[154:155], a[18:19], v[180:183]// 00000000A340: D3F300B4 1ED2259A
	v_mfma_f32_16x16x32_fp8_fp8 v[180:183], a[156:157], a[20:21], v[180:183]// 00000000A348: D3F300B4 1ED2299C
	v_mfma_f32_16x16x32_fp8_fp8 v[180:183], a[158:159], a[22:23], v[180:183]// 00000000A350: D3F300B4 1ED22D9E
	v_mfma_f32_16x16x32_fp8_fp8 v[136:139], a[128:129], a[24:25], v[136:139]// 00000000A358: D3F30088 1E223180
	v_mfma_f32_16x16x32_fp8_fp8 v[136:139], a[130:131], a[26:27], v[136:139]// 00000000A360: D3F30088 1E223582
	v_mfma_f32_16x16x32_fp8_fp8 v[136:139], a[132:133], a[28:29], v[136:139]// 00000000A368: D3F30088 1E223984
	v_mfma_f32_16x16x32_fp8_fp8 v[136:139], a[134:135], a[30:31], v[136:139]// 00000000A370: D3F30088 1E223D86
	v_mfma_f32_16x16x32_fp8_fp8 v[152:155], a[136:137], a[24:25], v[152:155]// 00000000A378: D3F30098 1E623188
	v_mfma_f32_16x16x32_fp8_fp8 v[152:155], a[138:139], a[26:27], v[152:155]// 00000000A380: D3F30098 1E62358A
	v_mfma_f32_16x16x32_fp8_fp8 v[152:155], a[140:141], a[28:29], v[152:155]// 00000000A388: D3F30098 1E62398C
	v_mfma_f32_16x16x32_fp8_fp8 v[152:155], a[142:143], a[30:31], v[152:155]// 00000000A390: D3F30098 1E623D8E
	v_mfma_f32_16x16x32_fp8_fp8 v[168:171], a[144:145], a[24:25], v[168:171]// 00000000A398: D3F300A8 1EA23190
	s_add_u32 s60, 0x180, s80                                  // 00000000A3A0: 803C50FF 00000180
	s_cmp_lt_u32 s60, s81                                      // 00000000A3A8: BF0A513C
	s_cselect_b32 s57, s57, 0                                  // 00000000A3AC: 85398039
	v_mfma_f32_16x16x32_fp8_fp8 v[168:171], a[146:147], a[26:27], v[168:171]// 00000000A3B0: D3F300A8 1EA23592
	s_add_u32 s60, 0x100, s80                                  // 00000000A3B8: 803C50FF 00000100
	s_cmp_lt_u32 s60, s81                                      // 00000000A3C0: BF0A513C
	s_cselect_b32 s58, s58, 0                                  // 00000000A3C4: 853A803A
	v_mfma_f32_16x16x32_fp8_fp8 v[168:171], a[148:149], a[28:29], v[168:171]// 00000000A3C8: D3F300A8 1EA23994
	s_add_u32 s60, 0x100, s80                                  // 00000000A3D0: 803C50FF 00000100
	s_cmp_lt_u32 s60, s81                                      // 00000000A3D8: BF0A513C
	s_cselect_b32 s83, s83, 0                                  // 00000000A3DC: 85538053
	v_mfma_f32_16x16x32_fp8_fp8 v[168:171], a[150:151], a[30:31], v[168:171]// 00000000A3E0: D3F300A8 1EA23D96
	s_add_u32 s24, s58, s24                                    // 00000000A3E8: 8018183A
	s_addc_u32 s25, 0, s25                                     // 00000000A3EC: 82191980
	v_mfma_f32_16x16x32_fp8_fp8 v[184:187], a[152:153], a[24:25], v[184:187]// 00000000A3F0: D3F300B8 1EE23198
	s_add_u32 s20, s57, s20                                    // 00000000A3F8: 80141439
	s_addc_u32 s21, 0, s21                                     // 00000000A3FC: 82151580
	v_mfma_f32_16x16x32_fp8_fp8 v[184:187], a[154:155], a[26:27], v[184:187]// 00000000A400: D3F300B8 1EE2359A
	s_add_u32 s84, s83, s84                                    // 00000000A408: 80545453
	s_addc_u32 s85, 0, s85                                     // 00000000A40C: 82555580
	v_mfma_f32_16x16x32_fp8_fp8 v[184:187], a[156:157], a[28:29], v[184:187]// 00000000A410: D3F300B8 1EE2399C
	v_mfma_f32_16x16x32_fp8_fp8 v[184:187], a[158:159], a[30:31], v[184:187]// 00000000A418: D3F300B8 1EE23D9E
	s_addk_i32 s80, 0x80                                       // 00000000A420: B7500080
	s_cmp_lt_i32 s80, s81                                      // 00000000A424: BF045150
	s_cbranch_scc0 label_22C4                                  // 00000000A428: BF840436
	s_waitcnt vmcnt(16) lgkmcnt(0)                             // 00000000A42C: BF8C4070
	v_mfma_f32_16x16x32_fp8_fp8 v[60:63], a[64:65], a[32:33], v[60:63]// 00000000A430: D3F3003C 1CF24140
	buffer_load_dwordx4 a[128:131], v54, s[24:27], 0 offen     // 00000000A438: E05C1000 80868036
	v_mfma_f32_16x16x32_fp8_fp8 v[60:63], a[66:67], a[34:35], v[60:63]// 00000000A440: D3F3003C 1CF24542
	v_mfma_f32_16x16x32_fp8_fp8 v[60:63], a[68:69], a[36:37], v[60:63]// 00000000A448: D3F3003C 1CF24944
	v_mfma_f32_16x16x32_fp8_fp8 v[60:63], a[70:71], a[38:39], v[60:63]// 00000000A450: D3F3003C 1CF24D46
	v_mfma_f32_16x16x32_fp8_fp8 v[76:79], a[72:73], a[32:33], v[76:79]// 00000000A458: D3F3004C 1D324148
	buffer_load_dwordx4 a[132:135], v54, s[24:27], 0 offen offset:1024// 00000000A460: E05C1400 80868436
	v_mfma_f32_16x16x32_fp8_fp8 v[76:79], a[74:75], a[34:35], v[76:79]// 00000000A468: D3F3004C 1D32454A
	v_mfma_f32_16x16x32_fp8_fp8 v[76:79], a[76:77], a[36:37], v[76:79]// 00000000A470: D3F3004C 1D32494C
	v_mfma_f32_16x16x32_fp8_fp8 v[76:79], a[78:79], a[38:39], v[76:79]// 00000000A478: D3F3004C 1D324D4E
	v_mfma_f32_16x16x32_fp8_fp8 v[92:95], a[80:81], a[32:33], v[92:95]// 00000000A480: D3F3005C 1D724150
	buffer_load_dwordx4 a[136:139], v55, s[24:27], 0 offen     // 00000000A488: E05C1000 80868837
	v_mfma_f32_16x16x32_fp8_fp8 v[92:95], a[82:83], a[34:35], v[92:95]// 00000000A490: D3F3005C 1D724552
	v_mfma_f32_16x16x32_fp8_fp8 v[92:95], a[84:85], a[36:37], v[92:95]// 00000000A498: D3F3005C 1D724954
	v_mfma_f32_16x16x32_fp8_fp8 v[92:95], a[86:87], a[38:39], v[92:95]// 00000000A4A0: D3F3005C 1D724D56
	v_mfma_f32_16x16x32_fp8_fp8 v[108:111], a[88:89], a[32:33], v[108:111]// 00000000A4A8: D3F3006C 1DB24158
	buffer_load_dwordx4 a[140:143], v55, s[24:27], 0 offen offset:1024// 00000000A4B0: E05C1400 80868C37
	v_mfma_f32_16x16x32_fp8_fp8 v[108:111], a[90:91], a[34:35], v[108:111]// 00000000A4B8: D3F3006C 1DB2455A
	v_mfma_f32_16x16x32_fp8_fp8 v[108:111], a[92:93], a[36:37], v[108:111]// 00000000A4C0: D3F3006C 1DB2495C
	v_mfma_f32_16x16x32_fp8_fp8 v[108:111], a[94:95], a[38:39], v[108:111]// 00000000A4C8: D3F3006C 1DB24D5E
	v_mfma_f32_16x16x32_fp8_fp8 v[64:67], a[64:65], a[40:41], v[64:67]// 00000000A4D0: D3F30040 1D025140
	buffer_load_dwordx4 a[144:147], v56, s[24:27], 0 offen     // 00000000A4D8: E05C1000 80869038
	v_mfma_f32_16x16x32_fp8_fp8 v[64:67], a[66:67], a[42:43], v[64:67]// 00000000A4E0: D3F30040 1D025542
	v_mfma_f32_16x16x32_fp8_fp8 v[64:67], a[68:69], a[44:45], v[64:67]// 00000000A4E8: D3F30040 1D025944
	v_mfma_f32_16x16x32_fp8_fp8 v[64:67], a[70:71], a[46:47], v[64:67]// 00000000A4F0: D3F30040 1D025D46
	v_mfma_f32_16x16x32_fp8_fp8 v[80:83], a[72:73], a[40:41], v[80:83]// 00000000A4F8: D3F30050 1D425148
	buffer_load_dwordx4 a[148:151], v56, s[24:27], 0 offen offset:1024// 00000000A500: E05C1400 80869438
	v_mfma_f32_16x16x32_fp8_fp8 v[80:83], a[74:75], a[42:43], v[80:83]// 00000000A508: D3F30050 1D42554A
	v_mfma_f32_16x16x32_fp8_fp8 v[80:83], a[76:77], a[44:45], v[80:83]// 00000000A510: D3F30050 1D42594C
	v_mfma_f32_16x16x32_fp8_fp8 v[80:83], a[78:79], a[46:47], v[80:83]// 00000000A518: D3F30050 1D425D4E
	v_mfma_f32_16x16x32_fp8_fp8 v[96:99], a[80:81], a[40:41], v[96:99]// 00000000A520: D3F30060 1D825150
	buffer_load_dwordx4 a[152:155], v57, s[24:27], 0 offen     // 00000000A528: E05C1000 80869839
	v_mfma_f32_16x16x32_fp8_fp8 v[96:99], a[82:83], a[42:43], v[96:99]// 00000000A530: D3F30060 1D825552
	v_mfma_f32_16x16x32_fp8_fp8 v[96:99], a[84:85], a[44:45], v[96:99]// 00000000A538: D3F30060 1D825954
	v_mfma_f32_16x16x32_fp8_fp8 v[96:99], a[86:87], a[46:47], v[96:99]// 00000000A540: D3F30060 1D825D56
	v_mfma_f32_16x16x32_fp8_fp8 v[112:115], a[88:89], a[40:41], v[112:115]// 00000000A548: D3F30070 1DC25158
	buffer_load_dwordx4 a[156:159], v57, s[24:27], 0 offen offset:1024// 00000000A550: E05C1400 80869C39
	buffer_load_dword v46, s[20:23], 0 offen lds               // 00000000A558: E0511000 8005002E
	s_add_u32 m0, 0x100, s50                                   // 00000000A560: 807C32FF 00000100
	v_mfma_f32_16x16x32_fp8_fp8 v[112:115], a[90:91], a[42:43], v[112:115]// 00000000A568: D3F30070 1DC2555A
	v_mfma_f32_16x16x32_fp8_fp8 v[112:115], a[92:93], a[44:45], v[112:115]// 00000000A570: D3F30070 1DC2595C
	buffer_load_dword v47, s[20:23], 0 offen lds               // 00000000A578: E0511000 8005002F
	s_add_u32 m0, 0x200, s50                                   // 00000000A580: 807C32FF 00000200
	v_mfma_f32_16x16x32_fp8_fp8 v[112:115], a[94:95], a[46:47], v[112:115]// 00000000A588: D3F30070 1DC25D5E
	v_mfma_f32_16x16x32_fp8_fp8 v[68:71], a[64:65], a[48:49], v[68:71]// 00000000A590: D3F30044 1D126140
	buffer_load_dword v48, s[20:23], 0 offen lds               // 00000000A598: E0511000 80050030
	s_add_u32 m0, 0x300, s50                                   // 00000000A5A0: 807C32FF 00000300
	v_mfma_f32_16x16x32_fp8_fp8 v[68:71], a[66:67], a[50:51], v[68:71]// 00000000A5A8: D3F30044 1D126542
	v_mfma_f32_16x16x32_fp8_fp8 v[68:71], a[68:69], a[52:53], v[68:71]// 00000000A5B0: D3F30044 1D126944
	buffer_load_dword v49, s[20:23], 0 offen lds               // 00000000A5B8: E0511000 80050031
	s_add_u32 m0, 0x400, s50                                   // 00000000A5C0: 807C32FF 00000400
	v_mfma_f32_16x16x32_fp8_fp8 v[68:71], a[70:71], a[54:55], v[68:71]// 00000000A5C8: D3F30044 1D126D46
	v_mfma_f32_16x16x32_fp8_fp8 v[84:87], a[72:73], a[48:49], v[84:87]// 00000000A5D0: D3F30054 1D526148
	buffer_load_dword v50, s[20:23], 0 offen lds               // 00000000A5D8: E0511000 80050032
	s_add_u32 m0, 0x500, s50                                   // 00000000A5E0: 807C32FF 00000500
	v_mfma_f32_16x16x32_fp8_fp8 v[84:87], a[74:75], a[50:51], v[84:87]// 00000000A5E8: D3F30054 1D52654A
	v_mfma_f32_16x16x32_fp8_fp8 v[84:87], a[76:77], a[52:53], v[84:87]// 00000000A5F0: D3F30054 1D52694C
	buffer_load_dword v51, s[20:23], 0 offen lds               // 00000000A5F8: E0511000 80050033
	s_add_u32 m0, 0x600, s50                                   // 00000000A600: 807C32FF 00000600
	v_mfma_f32_16x16x32_fp8_fp8 v[84:87], a[78:79], a[54:55], v[84:87]// 00000000A608: D3F30054 1D526D4E
	v_mfma_f32_16x16x32_fp8_fp8 v[100:103], a[80:81], a[48:49], v[100:103]// 00000000A610: D3F30064 1D926150
	buffer_load_dword v52, s[20:23], 0 offen lds               // 00000000A618: E0511000 80050034
	s_add_u32 m0, 0x700, s50                                   // 00000000A620: 807C32FF 00000700
	v_mfma_f32_16x16x32_fp8_fp8 v[100:103], a[82:83], a[50:51], v[100:103]// 00000000A628: D3F30064 1D926552
	v_mfma_f32_16x16x32_fp8_fp8 v[100:103], a[84:85], a[52:53], v[100:103]// 00000000A630: D3F30064 1D926954
	buffer_load_dword v53, s[20:23], 0 offen lds               // 00000000A638: E0511000 80050035
	s_add_u32 m0, 0, s48                                       // 00000000A640: 807C3080
	v_mfma_f32_16x16x32_fp8_fp8 v[100:103], a[86:87], a[54:55], v[100:103]// 00000000A644: D3F30064 1D926D56
	v_mfma_f32_16x16x32_fp8_fp8 v[116:119], a[88:89], a[48:49], v[116:119]// 00000000A64C: D3F30074 1DD26158
	v_mfma_f32_16x16x32_fp8_fp8 v[116:119], a[90:91], a[50:51], v[116:119]// 00000000A654: D3F30074 1DD2655A
	v_mfma_f32_16x16x32_fp8_fp8 v[116:119], a[92:93], a[52:53], v[116:119]// 00000000A65C: D3F30074 1DD2695C
	v_mfma_f32_16x16x32_fp8_fp8 v[116:119], a[94:95], a[54:55], v[116:119]// 00000000A664: D3F30074 1DD26D5E
	v_mfma_f32_16x16x32_fp8_fp8 v[72:75], a[64:65], a[56:57], v[72:75]// 00000000A66C: D3F30048 1D227140
	v_mfma_f32_16x16x32_fp8_fp8 v[72:75], a[66:67], a[58:59], v[72:75]// 00000000A674: D3F30048 1D227542
	v_mfma_f32_16x16x32_fp8_fp8 v[72:75], a[68:69], a[60:61], v[72:75]// 00000000A67C: D3F30048 1D227944
	v_mfma_f32_16x16x32_fp8_fp8 v[72:75], a[70:71], a[62:63], v[72:75]// 00000000A684: D3F30048 1D227D46
	v_mfma_f32_16x16x32_fp8_fp8 v[88:91], a[72:73], a[56:57], v[88:91]// 00000000A68C: D3F30058 1D627148
	v_mfma_f32_16x16x32_fp8_fp8 v[88:91], a[74:75], a[58:59], v[88:91]// 00000000A694: D3F30058 1D62754A
	v_mfma_f32_16x16x32_fp8_fp8 v[88:91], a[76:77], a[60:61], v[88:91]// 00000000A69C: D3F30058 1D62794C
	v_mfma_f32_16x16x32_fp8_fp8 v[88:91], a[78:79], a[62:63], v[88:91]// 00000000A6A4: D3F30058 1D627D4E
	v_mfma_f32_16x16x32_fp8_fp8 v[104:107], a[80:81], a[56:57], v[104:107]// 00000000A6AC: D3F30068 1DA27150
	v_mfma_f32_16x16x32_fp8_fp8 v[104:107], a[82:83], a[58:59], v[104:107]// 00000000A6B4: D3F30068 1DA27552
	v_mfma_f32_16x16x32_fp8_fp8 v[104:107], a[84:85], a[60:61], v[104:107]// 00000000A6BC: D3F30068 1DA27954
	v_mfma_f32_16x16x32_fp8_fp8 v[104:107], a[86:87], a[62:63], v[104:107]// 00000000A6C4: D3F30068 1DA27D56
	v_mfma_f32_16x16x32_fp8_fp8 v[120:123], a[88:89], a[56:57], v[120:123]// 00000000A6CC: D3F30078 1DE27158
	v_mfma_f32_16x16x32_fp8_fp8 v[120:123], a[90:91], a[58:59], v[120:123]// 00000000A6D4: D3F30078 1DE2755A
	v_mfma_f32_16x16x32_fp8_fp8 v[120:123], a[92:93], a[60:61], v[120:123]// 00000000A6DC: D3F30078 1DE2795C
	v_mfma_f32_16x16x32_fp8_fp8 v[120:123], a[94:95], a[62:63], v[120:123]// 00000000A6E4: D3F30078 1DE27D5E
	s_waitcnt vmcnt(16)                                        // 00000000A6EC: BF8C4F70
	s_barrier                                                  // 00000000A6F0: BF8A0000
	v_mfma_f32_16x16x32_fp8_fp8 v[124:127], a[96:97], a[32:33], v[124:127]// 00000000A6F4: D3F3007C 1DF24160
	buffer_load_dwordx4 a[64:67], v54, s[84:87], 0 offen       // 00000000A6FC: E05C1000 80954036
	v_mfma_f32_16x16x32_fp8_fp8 v[124:127], a[98:99], a[34:35], v[124:127]// 00000000A704: D3F3007C 1DF24562
	v_mfma_f32_16x16x32_fp8_fp8 v[124:127], a[100:101], a[36:37], v[124:127]// 00000000A70C: D3F3007C 1DF24964
	ds_read_b128 a[0:3], v2 offset:8320                        // 00000000A714: DBFE2080 00000002
	ds_read_b128 a[4:7], v2 offset:8384                        // 00000000A71C: DBFE20C0 04000002
	v_mfma_f32_16x16x32_fp8_fp8 v[124:127], a[102:103], a[38:39], v[124:127]// 00000000A724: D3F3007C 1DF24D66
	v_mfma_f32_16x16x32_fp8_fp8 v[140:143], a[104:105], a[32:33], v[140:143]// 00000000A72C: D3F3008C 1E324168
	buffer_load_dwordx4 a[68:71], v54, s[84:87], 0 offen offset:1024// 00000000A734: E05C1400 80954436
	v_mfma_f32_16x16x32_fp8_fp8 v[140:143], a[106:107], a[34:35], v[140:143]// 00000000A73C: D3F3008C 1E32456A
	v_mfma_f32_16x16x32_fp8_fp8 v[140:143], a[108:109], a[36:37], v[140:143]// 00000000A744: D3F3008C 1E32496C
	ds_read_b128 a[8:11], v2 offset:8832                       // 00000000A74C: DBFE2280 08000002
	ds_read_b128 a[12:15], v2 offset:8896                      // 00000000A754: DBFE22C0 0C000002
	v_mfma_f32_16x16x32_fp8_fp8 v[140:143], a[110:111], a[38:39], v[140:143]// 00000000A75C: D3F3008C 1E324D6E
	v_mfma_f32_16x16x32_fp8_fp8 v[156:159], a[112:113], a[32:33], v[156:159]// 00000000A764: D3F3009C 1E724170
	buffer_load_dwordx4 a[72:75], v55, s[84:87], 0 offen       // 00000000A76C: E05C1000 80954837
	v_mfma_f32_16x16x32_fp8_fp8 v[156:159], a[114:115], a[34:35], v[156:159]// 00000000A774: D3F3009C 1E724572
	v_mfma_f32_16x16x32_fp8_fp8 v[156:159], a[116:117], a[36:37], v[156:159]// 00000000A77C: D3F3009C 1E724974
	ds_read_b128 a[16:19], v2 offset:9344                      // 00000000A784: DBFE2480 10000002
	ds_read_b128 a[20:23], v2 offset:9408                      // 00000000A78C: DBFE24C0 14000002
	v_mfma_f32_16x16x32_fp8_fp8 v[156:159], a[118:119], a[38:39], v[156:159]// 00000000A794: D3F3009C 1E724D76
	v_mfma_f32_16x16x32_fp8_fp8 v[172:175], a[120:121], a[32:33], v[172:175]// 00000000A79C: D3F300AC 1EB24178
	buffer_load_dwordx4 a[76:79], v55, s[84:87], 0 offen offset:1024// 00000000A7A4: E05C1400 80954C37
	v_mfma_f32_16x16x32_fp8_fp8 v[172:175], a[122:123], a[34:35], v[172:175]// 00000000A7AC: D3F300AC 1EB2457A
	v_mfma_f32_16x16x32_fp8_fp8 v[172:175], a[124:125], a[36:37], v[172:175]// 00000000A7B4: D3F300AC 1EB2497C
	ds_read_b128 a[24:27], v2 offset:9856                      // 00000000A7BC: DBFE2680 18000002
	ds_read_b128 a[28:31], v2 offset:9920                      // 00000000A7C4: DBFE26C0 1C000002
	v_mfma_f32_16x16x32_fp8_fp8 v[172:175], a[126:127], a[38:39], v[172:175]// 00000000A7CC: D3F300AC 1EB24D7E
	v_mfma_f32_16x16x32_fp8_fp8 v[128:131], a[96:97], a[40:41], v[128:131]// 00000000A7D4: D3F30080 1E025160
	buffer_load_dwordx4 a[80:83], v56, s[84:87], 0 offen       // 00000000A7DC: E05C1000 80955038
	v_mfma_f32_16x16x32_fp8_fp8 v[128:131], a[98:99], a[42:43], v[128:131]// 00000000A7E4: D3F30080 1E025562
	v_mfma_f32_16x16x32_fp8_fp8 v[128:131], a[100:101], a[44:45], v[128:131]// 00000000A7EC: D3F30080 1E025964
	v_mfma_f32_16x16x32_fp8_fp8 v[128:131], a[102:103], a[46:47], v[128:131]// 00000000A7F4: D3F30080 1E025D66
	v_mfma_f32_16x16x32_fp8_fp8 v[144:147], a[104:105], a[40:41], v[144:147]// 00000000A7FC: D3F30090 1E425168
	buffer_load_dwordx4 a[84:87], v56, s[84:87], 0 offen offset:1024// 00000000A804: E05C1400 80955438
	v_mfma_f32_16x16x32_fp8_fp8 v[144:147], a[106:107], a[42:43], v[144:147]// 00000000A80C: D3F30090 1E42556A
	v_mfma_f32_16x16x32_fp8_fp8 v[144:147], a[108:109], a[44:45], v[144:147]// 00000000A814: D3F30090 1E42596C
	v_mfma_f32_16x16x32_fp8_fp8 v[144:147], a[110:111], a[46:47], v[144:147]// 00000000A81C: D3F30090 1E425D6E
	v_mfma_f32_16x16x32_fp8_fp8 v[160:163], a[112:113], a[40:41], v[160:163]// 00000000A824: D3F300A0 1E825170
	buffer_load_dwordx4 a[88:91], v57, s[84:87], 0 offen       // 00000000A82C: E05C1000 80955839
	v_mfma_f32_16x16x32_fp8_fp8 v[160:163], a[114:115], a[42:43], v[160:163]// 00000000A834: D3F300A0 1E825572
	v_mfma_f32_16x16x32_fp8_fp8 v[160:163], a[116:117], a[44:45], v[160:163]// 00000000A83C: D3F300A0 1E825974
	v_mfma_f32_16x16x32_fp8_fp8 v[160:163], a[118:119], a[46:47], v[160:163]// 00000000A844: D3F300A0 1E825D76
	v_mfma_f32_16x16x32_fp8_fp8 v[176:179], a[120:121], a[40:41], v[176:179]// 00000000A84C: D3F300B0 1EC25178
	buffer_load_dwordx4 a[92:95], v57, s[84:87], 0 offen offset:1024// 00000000A854: E05C1400 80955C39
	v_mfma_f32_16x16x32_fp8_fp8 v[176:179], a[122:123], a[42:43], v[176:179]// 00000000A85C: D3F300B0 1EC2557A
	v_mfma_f32_16x16x32_fp8_fp8 v[176:179], a[124:125], a[44:45], v[176:179]// 00000000A864: D3F300B0 1EC2597C
	v_mfma_f32_16x16x32_fp8_fp8 v[176:179], a[126:127], a[46:47], v[176:179]// 00000000A86C: D3F300B0 1EC25D7E
	v_mfma_f32_16x16x32_fp8_fp8 v[132:135], a[96:97], a[48:49], v[132:135]// 00000000A874: D3F30084 1E126160
	v_mfma_f32_16x16x32_fp8_fp8 v[132:135], a[98:99], a[50:51], v[132:135]// 00000000A87C: D3F30084 1E126562
	v_mfma_f32_16x16x32_fp8_fp8 v[132:135], a[100:101], a[52:53], v[132:135]// 00000000A884: D3F30084 1E126964
	v_mfma_f32_16x16x32_fp8_fp8 v[132:135], a[102:103], a[54:55], v[132:135]// 00000000A88C: D3F30084 1E126D66
	v_mfma_f32_16x16x32_fp8_fp8 v[148:151], a[104:105], a[48:49], v[148:151]// 00000000A894: D3F30094 1E526168
	v_mfma_f32_16x16x32_fp8_fp8 v[148:151], a[106:107], a[50:51], v[148:151]// 00000000A89C: D3F30094 1E52656A
	v_mfma_f32_16x16x32_fp8_fp8 v[148:151], a[108:109], a[52:53], v[148:151]// 00000000A8A4: D3F30094 1E52696C
	v_mfma_f32_16x16x32_fp8_fp8 v[148:151], a[110:111], a[54:55], v[148:151]// 00000000A8AC: D3F30094 1E526D6E
	v_mfma_f32_16x16x32_fp8_fp8 v[164:167], a[112:113], a[48:49], v[164:167]// 00000000A8B4: D3F300A4 1E926170
	v_mfma_f32_16x16x32_fp8_fp8 v[164:167], a[114:115], a[50:51], v[164:167]// 00000000A8BC: D3F300A4 1E926572
	v_mfma_f32_16x16x32_fp8_fp8 v[164:167], a[116:117], a[52:53], v[164:167]// 00000000A8C4: D3F300A4 1E926974
	v_mfma_f32_16x16x32_fp8_fp8 v[164:167], a[118:119], a[54:55], v[164:167]// 00000000A8CC: D3F300A4 1E926D76
	v_mfma_f32_16x16x32_fp8_fp8 v[180:183], a[120:121], a[48:49], v[180:183]// 00000000A8D4: D3F300B4 1ED26178
	v_mfma_f32_16x16x32_fp8_fp8 v[180:183], a[122:123], a[50:51], v[180:183]// 00000000A8DC: D3F300B4 1ED2657A
	v_mfma_f32_16x16x32_fp8_fp8 v[180:183], a[124:125], a[52:53], v[180:183]// 00000000A8E4: D3F300B4 1ED2697C
	v_mfma_f32_16x16x32_fp8_fp8 v[180:183], a[126:127], a[54:55], v[180:183]// 00000000A8EC: D3F300B4 1ED26D7E
	v_mfma_f32_16x16x32_fp8_fp8 v[136:139], a[96:97], a[56:57], v[136:139]// 00000000A8F4: D3F30088 1E227160
	v_mfma_f32_16x16x32_fp8_fp8 v[136:139], a[98:99], a[58:59], v[136:139]// 00000000A8FC: D3F30088 1E227562
	v_mfma_f32_16x16x32_fp8_fp8 v[136:139], a[100:101], a[60:61], v[136:139]// 00000000A904: D3F30088 1E227964
	v_mfma_f32_16x16x32_fp8_fp8 v[136:139], a[102:103], a[62:63], v[136:139]// 00000000A90C: D3F30088 1E227D66
	v_mfma_f32_16x16x32_fp8_fp8 v[152:155], a[104:105], a[56:57], v[152:155]// 00000000A914: D3F30098 1E627168
	v_mfma_f32_16x16x32_fp8_fp8 v[152:155], a[106:107], a[58:59], v[152:155]// 00000000A91C: D3F30098 1E62756A
	v_mfma_f32_16x16x32_fp8_fp8 v[152:155], a[108:109], a[60:61], v[152:155]// 00000000A924: D3F30098 1E62796C
	v_mfma_f32_16x16x32_fp8_fp8 v[152:155], a[110:111], a[62:63], v[152:155]// 00000000A92C: D3F30098 1E627D6E
	v_mfma_f32_16x16x32_fp8_fp8 v[168:171], a[112:113], a[56:57], v[168:171]// 00000000A934: D3F300A8 1EA27170
	s_add_u32 s60, 0x180, s80                                  // 00000000A93C: 803C50FF 00000180
	s_cmp_lt_u32 s60, s81                                      // 00000000A944: BF0A513C
	s_cselect_b32 s57, s57, 0                                  // 00000000A948: 85398039
	v_mfma_f32_16x16x32_fp8_fp8 v[168:171], a[114:115], a[58:59], v[168:171]// 00000000A94C: D3F300A8 1EA27572
	s_add_u32 s60, 0x100, s80                                  // 00000000A954: 803C50FF 00000100
	s_cmp_lt_u32 s60, s81                                      // 00000000A95C: BF0A513C
	s_cselect_b32 s58, s58, 0                                  // 00000000A960: 853A803A
	v_mfma_f32_16x16x32_fp8_fp8 v[168:171], a[116:117], a[60:61], v[168:171]// 00000000A964: D3F300A8 1EA27974
	s_add_u32 s60, 0x100, s80                                  // 00000000A96C: 803C50FF 00000100
	s_cmp_lt_u32 s60, s81                                      // 00000000A974: BF0A513C
	s_cselect_b32 s83, s83, 0                                  // 00000000A978: 85538053
	v_mfma_f32_16x16x32_fp8_fp8 v[168:171], a[118:119], a[62:63], v[168:171]// 00000000A97C: D3F300A8 1EA27D76
	s_add_u32 s24, s58, s24                                    // 00000000A984: 8018183A
	s_addc_u32 s25, 0, s25                                     // 00000000A988: 82191980
	v_mfma_f32_16x16x32_fp8_fp8 v[184:187], a[120:121], a[56:57], v[184:187]// 00000000A98C: D3F300B8 1EE27178
	s_add_u32 s20, s57, s20                                    // 00000000A994: 80141439
	s_addc_u32 s21, 0, s21                                     // 00000000A998: 82151580
	v_mfma_f32_16x16x32_fp8_fp8 v[184:187], a[122:123], a[58:59], v[184:187]// 00000000A99C: D3F300B8 1EE2757A
	s_add_u32 s84, s83, s84                                    // 00000000A9A4: 80545453
	s_addc_u32 s85, 0, s85                                     // 00000000A9A8: 82555580
	v_mfma_f32_16x16x32_fp8_fp8 v[184:187], a[124:125], a[60:61], v[184:187]// 00000000A9AC: D3F300B8 1EE2797C
	v_mfma_f32_16x16x32_fp8_fp8 v[184:187], a[126:127], a[62:63], v[184:187]// 00000000A9B4: D3F300B8 1EE27D7E
	s_addk_i32 s80, 0x80                                       // 00000000A9BC: B7500080
	s_cmp_lt_i32 s80, s81                                      // 00000000A9C0: BF045150
	s_cbranch_scc0 label_22C4                                  // 00000000A9C4: BF8402CF
	s_waitcnt vmcnt(16) lgkmcnt(0)                             // 00000000A9C8: BF8C4070
	v_mfma_f32_16x16x32_fp8_fp8 v[60:63], a[128:129], a[0:1], v[60:63]// 00000000A9CC: D3F3003C 1CF20180
	buffer_load_dwordx4 a[96:99], v54, s[24:27], 0 offen       // 00000000A9D4: E05C1000 80866036
	v_mfma_f32_16x16x32_fp8_fp8 v[60:63], a[130:131], a[2:3], v[60:63]// 00000000A9DC: D3F3003C 1CF20582
	v_mfma_f32_16x16x32_fp8_fp8 v[60:63], a[132:133], a[4:5], v[60:63]// 00000000A9E4: D3F3003C 1CF20984
	v_mfma_f32_16x16x32_fp8_fp8 v[60:63], a[134:135], a[6:7], v[60:63]// 00000000A9EC: D3F3003C 1CF20D86
	v_mfma_f32_16x16x32_fp8_fp8 v[76:79], a[136:137], a[0:1], v[76:79]// 00000000A9F4: D3F3004C 1D320188
	buffer_load_dwordx4 a[100:103], v54, s[24:27], 0 offen offset:1024// 00000000A9FC: E05C1400 80866436
	v_mfma_f32_16x16x32_fp8_fp8 v[76:79], a[138:139], a[2:3], v[76:79]// 00000000AA04: D3F3004C 1D32058A
	v_mfma_f32_16x16x32_fp8_fp8 v[76:79], a[140:141], a[4:5], v[76:79]// 00000000AA0C: D3F3004C 1D32098C
	v_mfma_f32_16x16x32_fp8_fp8 v[76:79], a[142:143], a[6:7], v[76:79]// 00000000AA14: D3F3004C 1D320D8E
	v_mfma_f32_16x16x32_fp8_fp8 v[92:95], a[144:145], a[0:1], v[92:95]// 00000000AA1C: D3F3005C 1D720190
	buffer_load_dwordx4 a[104:107], v55, s[24:27], 0 offen     // 00000000AA24: E05C1000 80866837
	v_mfma_f32_16x16x32_fp8_fp8 v[92:95], a[146:147], a[2:3], v[92:95]// 00000000AA2C: D3F3005C 1D720592
	v_mfma_f32_16x16x32_fp8_fp8 v[92:95], a[148:149], a[4:5], v[92:95]// 00000000AA34: D3F3005C 1D720994
	v_mfma_f32_16x16x32_fp8_fp8 v[92:95], a[150:151], a[6:7], v[92:95]// 00000000AA3C: D3F3005C 1D720D96
	v_mfma_f32_16x16x32_fp8_fp8 v[108:111], a[152:153], a[0:1], v[108:111]// 00000000AA44: D3F3006C 1DB20198
	buffer_load_dwordx4 a[108:111], v55, s[24:27], 0 offen offset:1024// 00000000AA4C: E05C1400 80866C37
	v_mfma_f32_16x16x32_fp8_fp8 v[108:111], a[154:155], a[2:3], v[108:111]// 00000000AA54: D3F3006C 1DB2059A
	v_mfma_f32_16x16x32_fp8_fp8 v[108:111], a[156:157], a[4:5], v[108:111]// 00000000AA5C: D3F3006C 1DB2099C
	v_mfma_f32_16x16x32_fp8_fp8 v[108:111], a[158:159], a[6:7], v[108:111]// 00000000AA64: D3F3006C 1DB20D9E
	v_mfma_f32_16x16x32_fp8_fp8 v[64:67], a[128:129], a[8:9], v[64:67]// 00000000AA6C: D3F30040 1D021180
	buffer_load_dwordx4 a[112:115], v56, s[24:27], 0 offen     // 00000000AA74: E05C1000 80867038
	v_mfma_f32_16x16x32_fp8_fp8 v[64:67], a[130:131], a[10:11], v[64:67]// 00000000AA7C: D3F30040 1D021582
	v_mfma_f32_16x16x32_fp8_fp8 v[64:67], a[132:133], a[12:13], v[64:67]// 00000000AA84: D3F30040 1D021984
	v_mfma_f32_16x16x32_fp8_fp8 v[64:67], a[134:135], a[14:15], v[64:67]// 00000000AA8C: D3F30040 1D021D86
	v_mfma_f32_16x16x32_fp8_fp8 v[80:83], a[136:137], a[8:9], v[80:83]// 00000000AA94: D3F30050 1D421188
	buffer_load_dwordx4 a[116:119], v56, s[24:27], 0 offen offset:1024// 00000000AA9C: E05C1400 80867438
	v_mfma_f32_16x16x32_fp8_fp8 v[80:83], a[138:139], a[10:11], v[80:83]// 00000000AAA4: D3F30050 1D42158A
	v_mfma_f32_16x16x32_fp8_fp8 v[80:83], a[140:141], a[12:13], v[80:83]// 00000000AAAC: D3F30050 1D42198C
	v_mfma_f32_16x16x32_fp8_fp8 v[80:83], a[142:143], a[14:15], v[80:83]// 00000000AAB4: D3F30050 1D421D8E
	v_mfma_f32_16x16x32_fp8_fp8 v[96:99], a[144:145], a[8:9], v[96:99]// 00000000AABC: D3F30060 1D821190
	buffer_load_dwordx4 a[120:123], v57, s[24:27], 0 offen     // 00000000AAC4: E05C1000 80867839
	v_mfma_f32_16x16x32_fp8_fp8 v[96:99], a[146:147], a[10:11], v[96:99]// 00000000AACC: D3F30060 1D821592
	v_mfma_f32_16x16x32_fp8_fp8 v[96:99], a[148:149], a[12:13], v[96:99]// 00000000AAD4: D3F30060 1D821994
	v_mfma_f32_16x16x32_fp8_fp8 v[96:99], a[150:151], a[14:15], v[96:99]// 00000000AADC: D3F30060 1D821D96
	v_mfma_f32_16x16x32_fp8_fp8 v[112:115], a[152:153], a[8:9], v[112:115]// 00000000AAE4: D3F30070 1DC21198
	buffer_load_dwordx4 a[124:127], v57, s[24:27], 0 offen offset:1024// 00000000AAEC: E05C1400 80867C39
	buffer_load_dword v46, s[20:23], 0 offen lds               // 00000000AAF4: E0511000 8005002E
	s_add_u32 m0, 0x100, s48                                   // 00000000AAFC: 807C30FF 00000100
	v_mfma_f32_16x16x32_fp8_fp8 v[112:115], a[154:155], a[10:11], v[112:115]// 00000000AB04: D3F30070 1DC2159A
	v_mfma_f32_16x16x32_fp8_fp8 v[112:115], a[156:157], a[12:13], v[112:115]// 00000000AB0C: D3F30070 1DC2199C
	buffer_load_dword v47, s[20:23], 0 offen lds               // 00000000AB14: E0511000 8005002F
	s_add_u32 m0, 0x200, s48                                   // 00000000AB1C: 807C30FF 00000200
	v_mfma_f32_16x16x32_fp8_fp8 v[112:115], a[158:159], a[14:15], v[112:115]// 00000000AB24: D3F30070 1DC21D9E
	v_mfma_f32_16x16x32_fp8_fp8 v[68:71], a[128:129], a[16:17], v[68:71]// 00000000AB2C: D3F30044 1D122180
	buffer_load_dword v48, s[20:23], 0 offen lds               // 00000000AB34: E0511000 80050030
	s_add_u32 m0, 0x300, s48                                   // 00000000AB3C: 807C30FF 00000300
	v_mfma_f32_16x16x32_fp8_fp8 v[68:71], a[130:131], a[18:19], v[68:71]// 00000000AB44: D3F30044 1D122582
	v_mfma_f32_16x16x32_fp8_fp8 v[68:71], a[132:133], a[20:21], v[68:71]// 00000000AB4C: D3F30044 1D122984
	buffer_load_dword v49, s[20:23], 0 offen lds               // 00000000AB54: E0511000 80050031
	s_add_u32 m0, 0x400, s48                                   // 00000000AB5C: 807C30FF 00000400
	v_mfma_f32_16x16x32_fp8_fp8 v[68:71], a[134:135], a[22:23], v[68:71]// 00000000AB64: D3F30044 1D122D86
	v_mfma_f32_16x16x32_fp8_fp8 v[84:87], a[136:137], a[16:17], v[84:87]// 00000000AB6C: D3F30054 1D522188
	buffer_load_dword v50, s[20:23], 0 offen lds               // 00000000AB74: E0511000 80050032
	s_add_u32 m0, 0x500, s48                                   // 00000000AB7C: 807C30FF 00000500
	v_mfma_f32_16x16x32_fp8_fp8 v[84:87], a[138:139], a[18:19], v[84:87]// 00000000AB84: D3F30054 1D52258A
	v_mfma_f32_16x16x32_fp8_fp8 v[84:87], a[140:141], a[20:21], v[84:87]// 00000000AB8C: D3F30054 1D52298C
	buffer_load_dword v51, s[20:23], 0 offen lds               // 00000000AB94: E0511000 80050033
	s_add_u32 m0, 0x600, s48                                   // 00000000AB9C: 807C30FF 00000600
	v_mfma_f32_16x16x32_fp8_fp8 v[84:87], a[142:143], a[22:23], v[84:87]// 00000000ABA4: D3F30054 1D522D8E
	v_mfma_f32_16x16x32_fp8_fp8 v[100:103], a[144:145], a[16:17], v[100:103]// 00000000ABAC: D3F30064 1D922190
	buffer_load_dword v52, s[20:23], 0 offen lds               // 00000000ABB4: E0511000 80050034
	s_add_u32 m0, 0x700, s48                                   // 00000000ABBC: 807C30FF 00000700
	v_mfma_f32_16x16x32_fp8_fp8 v[100:103], a[146:147], a[18:19], v[100:103]// 00000000ABC4: D3F30064 1D922592
	v_mfma_f32_16x16x32_fp8_fp8 v[100:103], a[148:149], a[20:21], v[100:103]// 00000000ABCC: D3F30064 1D922994
	buffer_load_dword v53, s[20:23], 0 offen lds               // 00000000ABD4: E0511000 80050035
	s_add_u32 m0, 0, s49                                       // 00000000ABDC: 807C3180
	v_mfma_f32_16x16x32_fp8_fp8 v[100:103], a[150:151], a[22:23], v[100:103]// 00000000ABE0: D3F30064 1D922D96
	v_mfma_f32_16x16x32_fp8_fp8 v[116:119], a[152:153], a[16:17], v[116:119]// 00000000ABE8: D3F30074 1DD22198
	v_mfma_f32_16x16x32_fp8_fp8 v[116:119], a[154:155], a[18:19], v[116:119]// 00000000ABF0: D3F30074 1DD2259A
	v_mfma_f32_16x16x32_fp8_fp8 v[116:119], a[156:157], a[20:21], v[116:119]// 00000000ABF8: D3F30074 1DD2299C
	v_mfma_f32_16x16x32_fp8_fp8 v[116:119], a[158:159], a[22:23], v[116:119]// 00000000AC00: D3F30074 1DD22D9E
	v_mfma_f32_16x16x32_fp8_fp8 v[72:75], a[128:129], a[24:25], v[72:75]// 00000000AC08: D3F30048 1D223180
	v_mfma_f32_16x16x32_fp8_fp8 v[72:75], a[130:131], a[26:27], v[72:75]// 00000000AC10: D3F30048 1D223582
	v_mfma_f32_16x16x32_fp8_fp8 v[72:75], a[132:133], a[28:29], v[72:75]// 00000000AC18: D3F30048 1D223984
	v_mfma_f32_16x16x32_fp8_fp8 v[72:75], a[134:135], a[30:31], v[72:75]// 00000000AC20: D3F30048 1D223D86
	v_mfma_f32_16x16x32_fp8_fp8 v[88:91], a[136:137], a[24:25], v[88:91]// 00000000AC28: D3F30058 1D623188
	v_mfma_f32_16x16x32_fp8_fp8 v[88:91], a[138:139], a[26:27], v[88:91]// 00000000AC30: D3F30058 1D62358A
	v_mfma_f32_16x16x32_fp8_fp8 v[88:91], a[140:141], a[28:29], v[88:91]// 00000000AC38: D3F30058 1D62398C
	v_mfma_f32_16x16x32_fp8_fp8 v[88:91], a[142:143], a[30:31], v[88:91]// 00000000AC40: D3F30058 1D623D8E
	v_mfma_f32_16x16x32_fp8_fp8 v[104:107], a[144:145], a[24:25], v[104:107]// 00000000AC48: D3F30068 1DA23190
	v_mfma_f32_16x16x32_fp8_fp8 v[104:107], a[146:147], a[26:27], v[104:107]// 00000000AC50: D3F30068 1DA23592
	v_mfma_f32_16x16x32_fp8_fp8 v[104:107], a[148:149], a[28:29], v[104:107]// 00000000AC58: D3F30068 1DA23994
	v_mfma_f32_16x16x32_fp8_fp8 v[104:107], a[150:151], a[30:31], v[104:107]// 00000000AC60: D3F30068 1DA23D96
	v_mfma_f32_16x16x32_fp8_fp8 v[120:123], a[152:153], a[24:25], v[120:123]// 00000000AC68: D3F30078 1DE23198
	v_mfma_f32_16x16x32_fp8_fp8 v[120:123], a[154:155], a[26:27], v[120:123]// 00000000AC70: D3F30078 1DE2359A
	v_mfma_f32_16x16x32_fp8_fp8 v[120:123], a[156:157], a[28:29], v[120:123]// 00000000AC78: D3F30078 1DE2399C
	v_mfma_f32_16x16x32_fp8_fp8 v[120:123], a[158:159], a[30:31], v[120:123]// 00000000AC80: D3F30078 1DE23D9E
	s_waitcnt vmcnt(16)                                        // 00000000AC88: BF8C4F70
	s_barrier                                                  // 00000000AC8C: BF8A0000
	v_mfma_f32_16x16x32_fp8_fp8 v[124:127], a[64:65], a[0:1], v[124:127]// 00000000AC90: D3F3007C 1DF20140
	buffer_load_dwordx4 a[128:131], v54, s[84:87], 0 offen     // 00000000AC98: E05C1000 80958036
	v_mfma_f32_16x16x32_fp8_fp8 v[124:127], a[66:67], a[2:3], v[124:127]// 00000000ACA0: D3F3007C 1DF20542
	v_mfma_f32_16x16x32_fp8_fp8 v[124:127], a[68:69], a[4:5], v[124:127]// 00000000ACA8: D3F3007C 1DF20944
	ds_read_b128 a[32:35], v2 offset:16640                     // 00000000ACB0: DBFE4100 20000002
	ds_read_b128 a[36:39], v2 offset:16704                     // 00000000ACB8: DBFE4140 24000002
	v_mfma_f32_16x16x32_fp8_fp8 v[124:127], a[70:71], a[6:7], v[124:127]// 00000000ACC0: D3F3007C 1DF20D46
	v_mfma_f32_16x16x32_fp8_fp8 v[140:143], a[72:73], a[0:1], v[140:143]// 00000000ACC8: D3F3008C 1E320148
	buffer_load_dwordx4 a[132:135], v54, s[84:87], 0 offen offset:1024// 00000000ACD0: E05C1400 80958436
	v_mfma_f32_16x16x32_fp8_fp8 v[140:143], a[74:75], a[2:3], v[140:143]// 00000000ACD8: D3F3008C 1E32054A
	v_mfma_f32_16x16x32_fp8_fp8 v[140:143], a[76:77], a[4:5], v[140:143]// 00000000ACE0: D3F3008C 1E32094C
	ds_read_b128 a[40:43], v2 offset:17152                     // 00000000ACE8: DBFE4300 28000002
	ds_read_b128 a[44:47], v2 offset:17216                     // 00000000ACF0: DBFE4340 2C000002
	v_mfma_f32_16x16x32_fp8_fp8 v[140:143], a[78:79], a[6:7], v[140:143]// 00000000ACF8: D3F3008C 1E320D4E
	v_mfma_f32_16x16x32_fp8_fp8 v[156:159], a[80:81], a[0:1], v[156:159]// 00000000AD00: D3F3009C 1E720150
	buffer_load_dwordx4 a[136:139], v55, s[84:87], 0 offen     // 00000000AD08: E05C1000 80958837
	v_mfma_f32_16x16x32_fp8_fp8 v[156:159], a[82:83], a[2:3], v[156:159]// 00000000AD10: D3F3009C 1E720552
	v_mfma_f32_16x16x32_fp8_fp8 v[156:159], a[84:85], a[4:5], v[156:159]// 00000000AD18: D3F3009C 1E720954
	ds_read_b128 a[48:51], v2 offset:17664                     // 00000000AD20: DBFE4500 30000002
	ds_read_b128 a[52:55], v2 offset:17728                     // 00000000AD28: DBFE4540 34000002
	v_mfma_f32_16x16x32_fp8_fp8 v[156:159], a[86:87], a[6:7], v[156:159]// 00000000AD30: D3F3009C 1E720D56
	v_mfma_f32_16x16x32_fp8_fp8 v[172:175], a[88:89], a[0:1], v[172:175]// 00000000AD38: D3F300AC 1EB20158
	buffer_load_dwordx4 a[140:143], v55, s[84:87], 0 offen offset:1024// 00000000AD40: E05C1400 80958C37
	v_mfma_f32_16x16x32_fp8_fp8 v[172:175], a[90:91], a[2:3], v[172:175]// 00000000AD48: D3F300AC 1EB2055A
	v_mfma_f32_16x16x32_fp8_fp8 v[172:175], a[92:93], a[4:5], v[172:175]// 00000000AD50: D3F300AC 1EB2095C
	ds_read_b128 a[56:59], v2 offset:18176                     // 00000000AD58: DBFE4700 38000002
	ds_read_b128 a[60:63], v2 offset:18240                     // 00000000AD60: DBFE4740 3C000002
	v_mfma_f32_16x16x32_fp8_fp8 v[172:175], a[94:95], a[6:7], v[172:175]// 00000000AD68: D3F300AC 1EB20D5E
	v_mfma_f32_16x16x32_fp8_fp8 v[128:131], a[64:65], a[8:9], v[128:131]// 00000000AD70: D3F30080 1E021140
	buffer_load_dwordx4 a[144:147], v56, s[84:87], 0 offen     // 00000000AD78: E05C1000 80959038
	v_mfma_f32_16x16x32_fp8_fp8 v[128:131], a[66:67], a[10:11], v[128:131]// 00000000AD80: D3F30080 1E021542
	v_mfma_f32_16x16x32_fp8_fp8 v[128:131], a[68:69], a[12:13], v[128:131]// 00000000AD88: D3F30080 1E021944
	v_mfma_f32_16x16x32_fp8_fp8 v[128:131], a[70:71], a[14:15], v[128:131]// 00000000AD90: D3F30080 1E021D46
	v_mfma_f32_16x16x32_fp8_fp8 v[144:147], a[72:73], a[8:9], v[144:147]// 00000000AD98: D3F30090 1E421148
	buffer_load_dwordx4 a[148:151], v56, s[84:87], 0 offen offset:1024// 00000000ADA0: E05C1400 80959438
	v_mfma_f32_16x16x32_fp8_fp8 v[144:147], a[74:75], a[10:11], v[144:147]// 00000000ADA8: D3F30090 1E42154A
	v_mfma_f32_16x16x32_fp8_fp8 v[144:147], a[76:77], a[12:13], v[144:147]// 00000000ADB0: D3F30090 1E42194C
	v_mfma_f32_16x16x32_fp8_fp8 v[144:147], a[78:79], a[14:15], v[144:147]// 00000000ADB8: D3F30090 1E421D4E
	v_mfma_f32_16x16x32_fp8_fp8 v[160:163], a[80:81], a[8:9], v[160:163]// 00000000ADC0: D3F300A0 1E821150
	buffer_load_dwordx4 a[152:155], v57, s[84:87], 0 offen     // 00000000ADC8: E05C1000 80959839
	v_mfma_f32_16x16x32_fp8_fp8 v[160:163], a[82:83], a[10:11], v[160:163]// 00000000ADD0: D3F300A0 1E821552
	v_mfma_f32_16x16x32_fp8_fp8 v[160:163], a[84:85], a[12:13], v[160:163]// 00000000ADD8: D3F300A0 1E821954
	v_mfma_f32_16x16x32_fp8_fp8 v[160:163], a[86:87], a[14:15], v[160:163]// 00000000ADE0: D3F300A0 1E821D56
	v_mfma_f32_16x16x32_fp8_fp8 v[176:179], a[88:89], a[8:9], v[176:179]// 00000000ADE8: D3F300B0 1EC21158
	buffer_load_dwordx4 a[156:159], v57, s[84:87], 0 offen offset:1024// 00000000ADF0: E05C1400 80959C39
	v_mfma_f32_16x16x32_fp8_fp8 v[176:179], a[90:91], a[10:11], v[176:179]// 00000000ADF8: D3F300B0 1EC2155A
	v_mfma_f32_16x16x32_fp8_fp8 v[176:179], a[92:93], a[12:13], v[176:179]// 00000000AE00: D3F300B0 1EC2195C
	v_mfma_f32_16x16x32_fp8_fp8 v[176:179], a[94:95], a[14:15], v[176:179]// 00000000AE08: D3F300B0 1EC21D5E
	v_mfma_f32_16x16x32_fp8_fp8 v[132:135], a[64:65], a[16:17], v[132:135]// 00000000AE10: D3F30084 1E122140
	v_mfma_f32_16x16x32_fp8_fp8 v[132:135], a[66:67], a[18:19], v[132:135]// 00000000AE18: D3F30084 1E122542
	v_mfma_f32_16x16x32_fp8_fp8 v[132:135], a[68:69], a[20:21], v[132:135]// 00000000AE20: D3F30084 1E122944
	v_mfma_f32_16x16x32_fp8_fp8 v[132:135], a[70:71], a[22:23], v[132:135]// 00000000AE28: D3F30084 1E122D46
	v_mfma_f32_16x16x32_fp8_fp8 v[148:151], a[72:73], a[16:17], v[148:151]// 00000000AE30: D3F30094 1E522148
	v_mfma_f32_16x16x32_fp8_fp8 v[148:151], a[74:75], a[18:19], v[148:151]// 00000000AE38: D3F30094 1E52254A
	v_mfma_f32_16x16x32_fp8_fp8 v[148:151], a[76:77], a[20:21], v[148:151]// 00000000AE40: D3F30094 1E52294C
	v_mfma_f32_16x16x32_fp8_fp8 v[148:151], a[78:79], a[22:23], v[148:151]// 00000000AE48: D3F30094 1E522D4E
	v_mfma_f32_16x16x32_fp8_fp8 v[164:167], a[80:81], a[16:17], v[164:167]// 00000000AE50: D3F300A4 1E922150
	v_mfma_f32_16x16x32_fp8_fp8 v[164:167], a[82:83], a[18:19], v[164:167]// 00000000AE58: D3F300A4 1E922552
	v_mfma_f32_16x16x32_fp8_fp8 v[164:167], a[84:85], a[20:21], v[164:167]// 00000000AE60: D3F300A4 1E922954
	v_mfma_f32_16x16x32_fp8_fp8 v[164:167], a[86:87], a[22:23], v[164:167]// 00000000AE68: D3F300A4 1E922D56
	v_mfma_f32_16x16x32_fp8_fp8 v[180:183], a[88:89], a[16:17], v[180:183]// 00000000AE70: D3F300B4 1ED22158
	v_mfma_f32_16x16x32_fp8_fp8 v[180:183], a[90:91], a[18:19], v[180:183]// 00000000AE78: D3F300B4 1ED2255A
	v_mfma_f32_16x16x32_fp8_fp8 v[180:183], a[92:93], a[20:21], v[180:183]// 00000000AE80: D3F300B4 1ED2295C
	v_mfma_f32_16x16x32_fp8_fp8 v[180:183], a[94:95], a[22:23], v[180:183]// 00000000AE88: D3F300B4 1ED22D5E
	v_mfma_f32_16x16x32_fp8_fp8 v[136:139], a[64:65], a[24:25], v[136:139]// 00000000AE90: D3F30088 1E223140
	v_mfma_f32_16x16x32_fp8_fp8 v[136:139], a[66:67], a[26:27], v[136:139]// 00000000AE98: D3F30088 1E223542
	v_mfma_f32_16x16x32_fp8_fp8 v[136:139], a[68:69], a[28:29], v[136:139]// 00000000AEA0: D3F30088 1E223944
	v_mfma_f32_16x16x32_fp8_fp8 v[136:139], a[70:71], a[30:31], v[136:139]// 00000000AEA8: D3F30088 1E223D46
	v_mfma_f32_16x16x32_fp8_fp8 v[152:155], a[72:73], a[24:25], v[152:155]// 00000000AEB0: D3F30098 1E623148
	v_mfma_f32_16x16x32_fp8_fp8 v[152:155], a[74:75], a[26:27], v[152:155]// 00000000AEB8: D3F30098 1E62354A
	v_mfma_f32_16x16x32_fp8_fp8 v[152:155], a[76:77], a[28:29], v[152:155]// 00000000AEC0: D3F30098 1E62394C
	v_mfma_f32_16x16x32_fp8_fp8 v[152:155], a[78:79], a[30:31], v[152:155]// 00000000AEC8: D3F30098 1E623D4E
	v_mfma_f32_16x16x32_fp8_fp8 v[168:171], a[80:81], a[24:25], v[168:171]// 00000000AED0: D3F300A8 1EA23150
	s_add_u32 s60, 0x180, s80                                  // 00000000AED8: 803C50FF 00000180
	s_cmp_lt_u32 s60, s81                                      // 00000000AEE0: BF0A513C
	s_cselect_b32 s57, s57, 0                                  // 00000000AEE4: 85398039
	v_mfma_f32_16x16x32_fp8_fp8 v[168:171], a[82:83], a[26:27], v[168:171]// 00000000AEE8: D3F300A8 1EA23552
	s_add_u32 s60, 0x100, s80                                  // 00000000AEF0: 803C50FF 00000100
	s_cmp_lt_u32 s60, s81                                      // 00000000AEF8: BF0A513C
	s_cselect_b32 s58, s58, 0                                  // 00000000AEFC: 853A803A
	v_mfma_f32_16x16x32_fp8_fp8 v[168:171], a[84:85], a[28:29], v[168:171]// 00000000AF00: D3F300A8 1EA23954
	s_add_u32 s60, 0x100, s80                                  // 00000000AF08: 803C50FF 00000100
	s_cmp_lt_u32 s60, s81                                      // 00000000AF10: BF0A513C
	s_cselect_b32 s83, s83, 0                                  // 00000000AF14: 85538053
	v_mfma_f32_16x16x32_fp8_fp8 v[168:171], a[86:87], a[30:31], v[168:171]// 00000000AF18: D3F300A8 1EA23D56
	s_add_u32 s24, s58, s24                                    // 00000000AF20: 8018183A
	s_addc_u32 s25, 0, s25                                     // 00000000AF24: 82191980
	v_mfma_f32_16x16x32_fp8_fp8 v[184:187], a[88:89], a[24:25], v[184:187]// 00000000AF28: D3F300B8 1EE23158
	s_add_u32 s20, s57, s20                                    // 00000000AF30: 80141439
	s_addc_u32 s21, 0, s21                                     // 00000000AF34: 82151580
	v_mfma_f32_16x16x32_fp8_fp8 v[184:187], a[90:91], a[26:27], v[184:187]// 00000000AF38: D3F300B8 1EE2355A
	s_add_u32 s84, s83, s84                                    // 00000000AF40: 80545453
	s_addc_u32 s85, 0, s85                                     // 00000000AF44: 82555580
	v_mfma_f32_16x16x32_fp8_fp8 v[184:187], a[92:93], a[28:29], v[184:187]// 00000000AF48: D3F300B8 1EE2395C
	v_mfma_f32_16x16x32_fp8_fp8 v[184:187], a[94:95], a[30:31], v[184:187]// 00000000AF50: D3F300B8 1EE23D5E
	s_addk_i32 s80, 0x80                                       // 00000000AF58: B7500080
	s_cmp_lt_i32 s80, s81                                      // 00000000AF5C: BF045150
	s_cbranch_scc0 label_22C4                                  // 00000000AF60: BF840168
	s_waitcnt vmcnt(16) lgkmcnt(0)                             // 00000000AF64: BF8C4070
	v_mfma_f32_16x16x32_fp8_fp8 v[60:63], a[96:97], a[32:33], v[60:63]// 00000000AF68: D3F3003C 1CF24160
	buffer_load_dwordx4 a[64:67], v54, s[24:27], 0 offen       // 00000000AF70: E05C1000 80864036
	v_mfma_f32_16x16x32_fp8_fp8 v[60:63], a[98:99], a[34:35], v[60:63]// 00000000AF78: D3F3003C 1CF24562
	v_mfma_f32_16x16x32_fp8_fp8 v[60:63], a[100:101], a[36:37], v[60:63]// 00000000AF80: D3F3003C 1CF24964
	v_mfma_f32_16x16x32_fp8_fp8 v[60:63], a[102:103], a[38:39], v[60:63]// 00000000AF88: D3F3003C 1CF24D66
	v_mfma_f32_16x16x32_fp8_fp8 v[76:79], a[104:105], a[32:33], v[76:79]// 00000000AF90: D3F3004C 1D324168
	buffer_load_dwordx4 a[68:71], v54, s[24:27], 0 offen offset:1024// 00000000AF98: E05C1400 80864436
	v_mfma_f32_16x16x32_fp8_fp8 v[76:79], a[106:107], a[34:35], v[76:79]// 00000000AFA0: D3F3004C 1D32456A
	v_mfma_f32_16x16x32_fp8_fp8 v[76:79], a[108:109], a[36:37], v[76:79]// 00000000AFA8: D3F3004C 1D32496C
	v_mfma_f32_16x16x32_fp8_fp8 v[76:79], a[110:111], a[38:39], v[76:79]// 00000000AFB0: D3F3004C 1D324D6E
	v_mfma_f32_16x16x32_fp8_fp8 v[92:95], a[112:113], a[32:33], v[92:95]// 00000000AFB8: D3F3005C 1D724170
	buffer_load_dwordx4 a[72:75], v55, s[24:27], 0 offen       // 00000000AFC0: E05C1000 80864837
	v_mfma_f32_16x16x32_fp8_fp8 v[92:95], a[114:115], a[34:35], v[92:95]// 00000000AFC8: D3F3005C 1D724572
	v_mfma_f32_16x16x32_fp8_fp8 v[92:95], a[116:117], a[36:37], v[92:95]// 00000000AFD0: D3F3005C 1D724974
	v_mfma_f32_16x16x32_fp8_fp8 v[92:95], a[118:119], a[38:39], v[92:95]// 00000000AFD8: D3F3005C 1D724D76
	v_mfma_f32_16x16x32_fp8_fp8 v[108:111], a[120:121], a[32:33], v[108:111]// 00000000AFE0: D3F3006C 1DB24178
	buffer_load_dwordx4 a[76:79], v55, s[24:27], 0 offen offset:1024// 00000000AFE8: E05C1400 80864C37
	v_mfma_f32_16x16x32_fp8_fp8 v[108:111], a[122:123], a[34:35], v[108:111]// 00000000AFF0: D3F3006C 1DB2457A
	v_mfma_f32_16x16x32_fp8_fp8 v[108:111], a[124:125], a[36:37], v[108:111]// 00000000AFF8: D3F3006C 1DB2497C
	v_mfma_f32_16x16x32_fp8_fp8 v[108:111], a[126:127], a[38:39], v[108:111]// 00000000B000: D3F3006C 1DB24D7E
	v_mfma_f32_16x16x32_fp8_fp8 v[64:67], a[96:97], a[40:41], v[64:67]// 00000000B008: D3F30040 1D025160
	buffer_load_dwordx4 a[80:83], v56, s[24:27], 0 offen       // 00000000B010: E05C1000 80865038
	v_mfma_f32_16x16x32_fp8_fp8 v[64:67], a[98:99], a[42:43], v[64:67]// 00000000B018: D3F30040 1D025562
	v_mfma_f32_16x16x32_fp8_fp8 v[64:67], a[100:101], a[44:45], v[64:67]// 00000000B020: D3F30040 1D025964
	v_mfma_f32_16x16x32_fp8_fp8 v[64:67], a[102:103], a[46:47], v[64:67]// 00000000B028: D3F30040 1D025D66
	v_mfma_f32_16x16x32_fp8_fp8 v[80:83], a[104:105], a[40:41], v[80:83]// 00000000B030: D3F30050 1D425168
	buffer_load_dwordx4 a[84:87], v56, s[24:27], 0 offen offset:1024// 00000000B038: E05C1400 80865438
	v_mfma_f32_16x16x32_fp8_fp8 v[80:83], a[106:107], a[42:43], v[80:83]// 00000000B040: D3F30050 1D42556A
	v_mfma_f32_16x16x32_fp8_fp8 v[80:83], a[108:109], a[44:45], v[80:83]// 00000000B048: D3F30050 1D42596C
	v_mfma_f32_16x16x32_fp8_fp8 v[80:83], a[110:111], a[46:47], v[80:83]// 00000000B050: D3F30050 1D425D6E
	v_mfma_f32_16x16x32_fp8_fp8 v[96:99], a[112:113], a[40:41], v[96:99]// 00000000B058: D3F30060 1D825170
	buffer_load_dwordx4 a[88:91], v57, s[24:27], 0 offen       // 00000000B060: E05C1000 80865839
	v_mfma_f32_16x16x32_fp8_fp8 v[96:99], a[114:115], a[42:43], v[96:99]// 00000000B068: D3F30060 1D825572
	v_mfma_f32_16x16x32_fp8_fp8 v[96:99], a[116:117], a[44:45], v[96:99]// 00000000B070: D3F30060 1D825974
	v_mfma_f32_16x16x32_fp8_fp8 v[96:99], a[118:119], a[46:47], v[96:99]// 00000000B078: D3F30060 1D825D76
	v_mfma_f32_16x16x32_fp8_fp8 v[112:115], a[120:121], a[40:41], v[112:115]// 00000000B080: D3F30070 1DC25178
	buffer_load_dwordx4 a[92:95], v57, s[24:27], 0 offen offset:1024// 00000000B088: E05C1400 80865C39
	buffer_load_dword v46, s[20:23], 0 offen lds               // 00000000B090: E0511000 8005002E
	s_add_u32 m0, 0x100, s49                                   // 00000000B098: 807C31FF 00000100
	v_mfma_f32_16x16x32_fp8_fp8 v[112:115], a[122:123], a[42:43], v[112:115]// 00000000B0A0: D3F30070 1DC2557A
	v_mfma_f32_16x16x32_fp8_fp8 v[112:115], a[124:125], a[44:45], v[112:115]// 00000000B0A8: D3F30070 1DC2597C
	buffer_load_dword v47, s[20:23], 0 offen lds               // 00000000B0B0: E0511000 8005002F
	s_add_u32 m0, 0x200, s49                                   // 00000000B0B8: 807C31FF 00000200
	v_mfma_f32_16x16x32_fp8_fp8 v[112:115], a[126:127], a[46:47], v[112:115]// 00000000B0C0: D3F30070 1DC25D7E
	v_mfma_f32_16x16x32_fp8_fp8 v[68:71], a[96:97], a[48:49], v[68:71]// 00000000B0C8: D3F30044 1D126160
	buffer_load_dword v48, s[20:23], 0 offen lds               // 00000000B0D0: E0511000 80050030
	s_add_u32 m0, 0x300, s49                                   // 00000000B0D8: 807C31FF 00000300
	v_mfma_f32_16x16x32_fp8_fp8 v[68:71], a[98:99], a[50:51], v[68:71]// 00000000B0E0: D3F30044 1D126562
	v_mfma_f32_16x16x32_fp8_fp8 v[68:71], a[100:101], a[52:53], v[68:71]// 00000000B0E8: D3F30044 1D126964
	buffer_load_dword v49, s[20:23], 0 offen lds               // 00000000B0F0: E0511000 80050031
	s_add_u32 m0, 0x400, s49                                   // 00000000B0F8: 807C31FF 00000400
	v_mfma_f32_16x16x32_fp8_fp8 v[68:71], a[102:103], a[54:55], v[68:71]// 00000000B100: D3F30044 1D126D66
	v_mfma_f32_16x16x32_fp8_fp8 v[84:87], a[104:105], a[48:49], v[84:87]// 00000000B108: D3F30054 1D526168
	buffer_load_dword v50, s[20:23], 0 offen lds               // 00000000B110: E0511000 80050032
	s_add_u32 m0, 0x500, s49                                   // 00000000B118: 807C31FF 00000500
	v_mfma_f32_16x16x32_fp8_fp8 v[84:87], a[106:107], a[50:51], v[84:87]// 00000000B120: D3F30054 1D52656A
	v_mfma_f32_16x16x32_fp8_fp8 v[84:87], a[108:109], a[52:53], v[84:87]// 00000000B128: D3F30054 1D52696C
	buffer_load_dword v51, s[20:23], 0 offen lds               // 00000000B130: E0511000 80050033
	s_add_u32 m0, 0x600, s49                                   // 00000000B138: 807C31FF 00000600
	v_mfma_f32_16x16x32_fp8_fp8 v[84:87], a[110:111], a[54:55], v[84:87]// 00000000B140: D3F30054 1D526D6E
	v_mfma_f32_16x16x32_fp8_fp8 v[100:103], a[112:113], a[48:49], v[100:103]// 00000000B148: D3F30064 1D926170
	buffer_load_dword v52, s[20:23], 0 offen lds               // 00000000B150: E0511000 80050034
	s_add_u32 m0, 0x700, s49                                   // 00000000B158: 807C31FF 00000700
	v_mfma_f32_16x16x32_fp8_fp8 v[100:103], a[114:115], a[50:51], v[100:103]// 00000000B160: D3F30064 1D926572
	v_mfma_f32_16x16x32_fp8_fp8 v[100:103], a[116:117], a[52:53], v[100:103]// 00000000B168: D3F30064 1D926974
	buffer_load_dword v53, s[20:23], 0 offen lds               // 00000000B170: E0511000 80050035
	s_add_u32 m0, 0, s50                                       // 00000000B178: 807C3280
	v_mfma_f32_16x16x32_fp8_fp8 v[100:103], a[118:119], a[54:55], v[100:103]// 00000000B17C: D3F30064 1D926D76
	v_mfma_f32_16x16x32_fp8_fp8 v[116:119], a[120:121], a[48:49], v[116:119]// 00000000B184: D3F30074 1DD26178
	v_mfma_f32_16x16x32_fp8_fp8 v[116:119], a[122:123], a[50:51], v[116:119]// 00000000B18C: D3F30074 1DD2657A
	v_mfma_f32_16x16x32_fp8_fp8 v[116:119], a[124:125], a[52:53], v[116:119]// 00000000B194: D3F30074 1DD2697C
	v_mfma_f32_16x16x32_fp8_fp8 v[116:119], a[126:127], a[54:55], v[116:119]// 00000000B19C: D3F30074 1DD26D7E
	v_mfma_f32_16x16x32_fp8_fp8 v[72:75], a[96:97], a[56:57], v[72:75]// 00000000B1A4: D3F30048 1D227160
	v_mfma_f32_16x16x32_fp8_fp8 v[72:75], a[98:99], a[58:59], v[72:75]// 00000000B1AC: D3F30048 1D227562
	v_mfma_f32_16x16x32_fp8_fp8 v[72:75], a[100:101], a[60:61], v[72:75]// 00000000B1B4: D3F30048 1D227964
	v_mfma_f32_16x16x32_fp8_fp8 v[72:75], a[102:103], a[62:63], v[72:75]// 00000000B1BC: D3F30048 1D227D66
	v_mfma_f32_16x16x32_fp8_fp8 v[88:91], a[104:105], a[56:57], v[88:91]// 00000000B1C4: D3F30058 1D627168
	v_mfma_f32_16x16x32_fp8_fp8 v[88:91], a[106:107], a[58:59], v[88:91]// 00000000B1CC: D3F30058 1D62756A
	v_mfma_f32_16x16x32_fp8_fp8 v[88:91], a[108:109], a[60:61], v[88:91]// 00000000B1D4: D3F30058 1D62796C
	v_mfma_f32_16x16x32_fp8_fp8 v[88:91], a[110:111], a[62:63], v[88:91]// 00000000B1DC: D3F30058 1D627D6E
	v_mfma_f32_16x16x32_fp8_fp8 v[104:107], a[112:113], a[56:57], v[104:107]// 00000000B1E4: D3F30068 1DA27170
	v_mfma_f32_16x16x32_fp8_fp8 v[104:107], a[114:115], a[58:59], v[104:107]// 00000000B1EC: D3F30068 1DA27572
	v_mfma_f32_16x16x32_fp8_fp8 v[104:107], a[116:117], a[60:61], v[104:107]// 00000000B1F4: D3F30068 1DA27974
	v_mfma_f32_16x16x32_fp8_fp8 v[104:107], a[118:119], a[62:63], v[104:107]// 00000000B1FC: D3F30068 1DA27D76
	v_mfma_f32_16x16x32_fp8_fp8 v[120:123], a[120:121], a[56:57], v[120:123]// 00000000B204: D3F30078 1DE27178
	v_mfma_f32_16x16x32_fp8_fp8 v[120:123], a[122:123], a[58:59], v[120:123]// 00000000B20C: D3F30078 1DE2757A
	v_mfma_f32_16x16x32_fp8_fp8 v[120:123], a[124:125], a[60:61], v[120:123]// 00000000B214: D3F30078 1DE2797C
	v_mfma_f32_16x16x32_fp8_fp8 v[120:123], a[126:127], a[62:63], v[120:123]// 00000000B21C: D3F30078 1DE27D7E
	s_waitcnt vmcnt(16)                                        // 00000000B224: BF8C4F70
	s_barrier                                                  // 00000000B228: BF8A0000
	v_mfma_f32_16x16x32_fp8_fp8 v[124:127], a[128:129], a[32:33], v[124:127]// 00000000B22C: D3F3007C 1DF24180
	buffer_load_dwordx4 a[96:99], v54, s[84:87], 0 offen       // 00000000B234: E05C1000 80956036
	v_mfma_f32_16x16x32_fp8_fp8 v[124:127], a[130:131], a[34:35], v[124:127]// 00000000B23C: D3F3007C 1DF24582
	v_mfma_f32_16x16x32_fp8_fp8 v[124:127], a[132:133], a[36:37], v[124:127]// 00000000B244: D3F3007C 1DF24984
	ds_read_b128 a[0:3], v2                                    // 00000000B24C: DBFE0000 00000002
	ds_read_b128 a[4:7], v2 offset:64                          // 00000000B254: DBFE0040 04000002
	v_mfma_f32_16x16x32_fp8_fp8 v[124:127], a[134:135], a[38:39], v[124:127]// 00000000B25C: D3F3007C 1DF24D86
	v_mfma_f32_16x16x32_fp8_fp8 v[140:143], a[136:137], a[32:33], v[140:143]// 00000000B264: D3F3008C 1E324188
	buffer_load_dwordx4 a[100:103], v54, s[84:87], 0 offen offset:1024// 00000000B26C: E05C1400 80956436
	v_mfma_f32_16x16x32_fp8_fp8 v[140:143], a[138:139], a[34:35], v[140:143]// 00000000B274: D3F3008C 1E32458A
	v_mfma_f32_16x16x32_fp8_fp8 v[140:143], a[140:141], a[36:37], v[140:143]// 00000000B27C: D3F3008C 1E32498C
	ds_read_b128 a[8:11], v2 offset:512                        // 00000000B284: DBFE0200 08000002
	ds_read_b128 a[12:15], v2 offset:576                       // 00000000B28C: DBFE0240 0C000002
	v_mfma_f32_16x16x32_fp8_fp8 v[140:143], a[142:143], a[38:39], v[140:143]// 00000000B294: D3F3008C 1E324D8E
	v_mfma_f32_16x16x32_fp8_fp8 v[156:159], a[144:145], a[32:33], v[156:159]// 00000000B29C: D3F3009C 1E724190
	buffer_load_dwordx4 a[104:107], v55, s[84:87], 0 offen     // 00000000B2A4: E05C1000 80956837
	v_mfma_f32_16x16x32_fp8_fp8 v[156:159], a[146:147], a[34:35], v[156:159]// 00000000B2AC: D3F3009C 1E724592
	v_mfma_f32_16x16x32_fp8_fp8 v[156:159], a[148:149], a[36:37], v[156:159]// 00000000B2B4: D3F3009C 1E724994
	ds_read_b128 a[16:19], v2 offset:1024                      // 00000000B2BC: DBFE0400 10000002
	ds_read_b128 a[20:23], v2 offset:1088                      // 00000000B2C4: DBFE0440 14000002
	v_mfma_f32_16x16x32_fp8_fp8 v[156:159], a[150:151], a[38:39], v[156:159]// 00000000B2CC: D3F3009C 1E724D96
	v_mfma_f32_16x16x32_fp8_fp8 v[172:175], a[152:153], a[32:33], v[172:175]// 00000000B2D4: D3F300AC 1EB24198
	buffer_load_dwordx4 a[108:111], v55, s[84:87], 0 offen offset:1024// 00000000B2DC: E05C1400 80956C37
	v_mfma_f32_16x16x32_fp8_fp8 v[172:175], a[154:155], a[34:35], v[172:175]// 00000000B2E4: D3F300AC 1EB2459A
	v_mfma_f32_16x16x32_fp8_fp8 v[172:175], a[156:157], a[36:37], v[172:175]// 00000000B2EC: D3F300AC 1EB2499C
	ds_read_b128 a[24:27], v2 offset:1536                      // 00000000B2F4: DBFE0600 18000002
	ds_read_b128 a[28:31], v2 offset:1600                      // 00000000B2FC: DBFE0640 1C000002
	v_mfma_f32_16x16x32_fp8_fp8 v[172:175], a[158:159], a[38:39], v[172:175]// 00000000B304: D3F300AC 1EB24D9E
	v_mfma_f32_16x16x32_fp8_fp8 v[128:131], a[128:129], a[40:41], v[128:131]// 00000000B30C: D3F30080 1E025180
	buffer_load_dwordx4 a[112:115], v56, s[84:87], 0 offen     // 00000000B314: E05C1000 80957038
	v_mfma_f32_16x16x32_fp8_fp8 v[128:131], a[130:131], a[42:43], v[128:131]// 00000000B31C: D3F30080 1E025582
	v_mfma_f32_16x16x32_fp8_fp8 v[128:131], a[132:133], a[44:45], v[128:131]// 00000000B324: D3F30080 1E025984
	v_mfma_f32_16x16x32_fp8_fp8 v[128:131], a[134:135], a[46:47], v[128:131]// 00000000B32C: D3F30080 1E025D86
	v_mfma_f32_16x16x32_fp8_fp8 v[144:147], a[136:137], a[40:41], v[144:147]// 00000000B334: D3F30090 1E425188
	buffer_load_dwordx4 a[116:119], v56, s[84:87], 0 offen offset:1024// 00000000B33C: E05C1400 80957438
	v_mfma_f32_16x16x32_fp8_fp8 v[144:147], a[138:139], a[42:43], v[144:147]// 00000000B344: D3F30090 1E42558A
	v_mfma_f32_16x16x32_fp8_fp8 v[144:147], a[140:141], a[44:45], v[144:147]// 00000000B34C: D3F30090 1E42598C
	v_mfma_f32_16x16x32_fp8_fp8 v[144:147], a[142:143], a[46:47], v[144:147]// 00000000B354: D3F30090 1E425D8E
	v_mfma_f32_16x16x32_fp8_fp8 v[160:163], a[144:145], a[40:41], v[160:163]// 00000000B35C: D3F300A0 1E825190
	buffer_load_dwordx4 a[120:123], v57, s[84:87], 0 offen     // 00000000B364: E05C1000 80957839
	v_mfma_f32_16x16x32_fp8_fp8 v[160:163], a[146:147], a[42:43], v[160:163]// 00000000B36C: D3F300A0 1E825592
	v_mfma_f32_16x16x32_fp8_fp8 v[160:163], a[148:149], a[44:45], v[160:163]// 00000000B374: D3F300A0 1E825994
	v_mfma_f32_16x16x32_fp8_fp8 v[160:163], a[150:151], a[46:47], v[160:163]// 00000000B37C: D3F300A0 1E825D96
	v_mfma_f32_16x16x32_fp8_fp8 v[176:179], a[152:153], a[40:41], v[176:179]// 00000000B384: D3F300B0 1EC25198
	buffer_load_dwordx4 a[124:127], v57, s[84:87], 0 offen offset:1024// 00000000B38C: E05C1400 80957C39
	v_mfma_f32_16x16x32_fp8_fp8 v[176:179], a[154:155], a[42:43], v[176:179]// 00000000B394: D3F300B0 1EC2559A
	v_mfma_f32_16x16x32_fp8_fp8 v[176:179], a[156:157], a[44:45], v[176:179]// 00000000B39C: D3F300B0 1EC2599C
	v_mfma_f32_16x16x32_fp8_fp8 v[176:179], a[158:159], a[46:47], v[176:179]// 00000000B3A4: D3F300B0 1EC25D9E
	v_mfma_f32_16x16x32_fp8_fp8 v[132:135], a[128:129], a[48:49], v[132:135]// 00000000B3AC: D3F30084 1E126180
	v_mfma_f32_16x16x32_fp8_fp8 v[132:135], a[130:131], a[50:51], v[132:135]// 00000000B3B4: D3F30084 1E126582
	v_mfma_f32_16x16x32_fp8_fp8 v[132:135], a[132:133], a[52:53], v[132:135]// 00000000B3BC: D3F30084 1E126984
	v_mfma_f32_16x16x32_fp8_fp8 v[132:135], a[134:135], a[54:55], v[132:135]// 00000000B3C4: D3F30084 1E126D86
	v_mfma_f32_16x16x32_fp8_fp8 v[148:151], a[136:137], a[48:49], v[148:151]// 00000000B3CC: D3F30094 1E526188
	v_mfma_f32_16x16x32_fp8_fp8 v[148:151], a[138:139], a[50:51], v[148:151]// 00000000B3D4: D3F30094 1E52658A
	v_mfma_f32_16x16x32_fp8_fp8 v[148:151], a[140:141], a[52:53], v[148:151]// 00000000B3DC: D3F30094 1E52698C
	v_mfma_f32_16x16x32_fp8_fp8 v[148:151], a[142:143], a[54:55], v[148:151]// 00000000B3E4: D3F30094 1E526D8E
	v_mfma_f32_16x16x32_fp8_fp8 v[164:167], a[144:145], a[48:49], v[164:167]// 00000000B3EC: D3F300A4 1E926190
	v_mfma_f32_16x16x32_fp8_fp8 v[164:167], a[146:147], a[50:51], v[164:167]// 00000000B3F4: D3F300A4 1E926592
	v_mfma_f32_16x16x32_fp8_fp8 v[164:167], a[148:149], a[52:53], v[164:167]// 00000000B3FC: D3F300A4 1E926994
	v_mfma_f32_16x16x32_fp8_fp8 v[164:167], a[150:151], a[54:55], v[164:167]// 00000000B404: D3F300A4 1E926D96
	v_mfma_f32_16x16x32_fp8_fp8 v[180:183], a[152:153], a[48:49], v[180:183]// 00000000B40C: D3F300B4 1ED26198
	v_mfma_f32_16x16x32_fp8_fp8 v[180:183], a[154:155], a[50:51], v[180:183]// 00000000B414: D3F300B4 1ED2659A
	v_mfma_f32_16x16x32_fp8_fp8 v[180:183], a[156:157], a[52:53], v[180:183]// 00000000B41C: D3F300B4 1ED2699C
	v_mfma_f32_16x16x32_fp8_fp8 v[180:183], a[158:159], a[54:55], v[180:183]// 00000000B424: D3F300B4 1ED26D9E
	v_mfma_f32_16x16x32_fp8_fp8 v[136:139], a[128:129], a[56:57], v[136:139]// 00000000B42C: D3F30088 1E227180
	v_mfma_f32_16x16x32_fp8_fp8 v[136:139], a[130:131], a[58:59], v[136:139]// 00000000B434: D3F30088 1E227582
	v_mfma_f32_16x16x32_fp8_fp8 v[136:139], a[132:133], a[60:61], v[136:139]// 00000000B43C: D3F30088 1E227984
	v_mfma_f32_16x16x32_fp8_fp8 v[136:139], a[134:135], a[62:63], v[136:139]// 00000000B444: D3F30088 1E227D86
	v_mfma_f32_16x16x32_fp8_fp8 v[152:155], a[136:137], a[56:57], v[152:155]// 00000000B44C: D3F30098 1E627188
	v_mfma_f32_16x16x32_fp8_fp8 v[152:155], a[138:139], a[58:59], v[152:155]// 00000000B454: D3F30098 1E62758A
	v_mfma_f32_16x16x32_fp8_fp8 v[152:155], a[140:141], a[60:61], v[152:155]// 00000000B45C: D3F30098 1E62798C
	v_mfma_f32_16x16x32_fp8_fp8 v[152:155], a[142:143], a[62:63], v[152:155]// 00000000B464: D3F30098 1E627D8E
	v_mfma_f32_16x16x32_fp8_fp8 v[168:171], a[144:145], a[56:57], v[168:171]// 00000000B46C: D3F300A8 1EA27190
	s_add_u32 s60, 0x180, s80                                  // 00000000B474: 803C50FF 00000180
	s_cmp_lt_u32 s60, s81                                      // 00000000B47C: BF0A513C
	s_cselect_b32 s57, s57, 0                                  // 00000000B480: 85398039
	v_mfma_f32_16x16x32_fp8_fp8 v[168:171], a[146:147], a[58:59], v[168:171]// 00000000B484: D3F300A8 1EA27592
	s_add_u32 s60, 0x100, s80                                  // 00000000B48C: 803C50FF 00000100
	s_cmp_lt_u32 s60, s81                                      // 00000000B494: BF0A513C
	s_cselect_b32 s58, s58, 0                                  // 00000000B498: 853A803A
	v_mfma_f32_16x16x32_fp8_fp8 v[168:171], a[148:149], a[60:61], v[168:171]// 00000000B49C: D3F300A8 1EA27994
	s_add_u32 s60, 0x100, s80                                  // 00000000B4A4: 803C50FF 00000100
	s_cmp_lt_u32 s60, s81                                      // 00000000B4AC: BF0A513C
	s_cselect_b32 s83, s83, 0                                  // 00000000B4B0: 85538053
	v_mfma_f32_16x16x32_fp8_fp8 v[168:171], a[150:151], a[62:63], v[168:171]// 00000000B4B4: D3F300A8 1EA27D96
	s_add_u32 s24, s58, s24                                    // 00000000B4BC: 8018183A
	s_addc_u32 s25, 0, s25                                     // 00000000B4C0: 82191980
	v_mfma_f32_16x16x32_fp8_fp8 v[184:187], a[152:153], a[56:57], v[184:187]// 00000000B4C4: D3F300B8 1EE27198
	s_add_u32 s20, s57, s20                                    // 00000000B4CC: 80141439
	s_addc_u32 s21, 0, s21                                     // 00000000B4D0: 82151580
	v_mfma_f32_16x16x32_fp8_fp8 v[184:187], a[154:155], a[58:59], v[184:187]// 00000000B4D4: D3F300B8 1EE2759A
	s_add_u32 s84, s83, s84                                    // 00000000B4DC: 80545453
	s_addc_u32 s85, 0, s85                                     // 00000000B4E0: 82555580
	v_mfma_f32_16x16x32_fp8_fp8 v[184:187], a[156:157], a[60:61], v[184:187]// 00000000B4E4: D3F300B8 1EE2799C
	v_mfma_f32_16x16x32_fp8_fp8 v[184:187], a[158:159], a[62:63], v[184:187]// 00000000B4EC: D3F300B8 1EE27D9E
	s_addk_i32 s80, 0x80                                       // 00000000B4F4: B7500080
	s_cmp_lt_i32 s80, s81                                      // 00000000B4F8: BF045150
	s_cbranch_scc0 label_22C4                                  // 00000000B4FC: BF840001
	s_branch label_1A59                                        // 00000000B500: BF82F795

000000000000b504 <label_22C4>:
	v_mul_f32_dpp v60, v24, v60 row_newbcast:0 row_mask:0xf bank_mask:0xf// 00000000B504: 0A7878FA FF015018
	v_mul_f32_dpp v61, v24, v61 row_newbcast:1 row_mask:0xf bank_mask:0xf// 00000000B50C: 0A7A7AFA FF015118
	v_mul_f32_dpp v62, v24, v62 row_newbcast:2 row_mask:0xf bank_mask:0xf// 00000000B514: 0A7C7CFA FF015218
	v_mul_f32_dpp v63, v24, v63 row_newbcast:3 row_mask:0xf bank_mask:0xf// 00000000B51C: 0A7E7EFA FF015318
	v_mul_f32_dpp v64, v24, v64 row_newbcast:0 row_mask:0xf bank_mask:0xf// 00000000B524: 0A8080FA FF015018
	v_mul_f32_dpp v65, v24, v65 row_newbcast:1 row_mask:0xf bank_mask:0xf// 00000000B52C: 0A8282FA FF015118
	v_mul_f32_dpp v66, v24, v66 row_newbcast:2 row_mask:0xf bank_mask:0xf// 00000000B534: 0A8484FA FF015218
	v_mul_f32_dpp v67, v24, v67 row_newbcast:3 row_mask:0xf bank_mask:0xf// 00000000B53C: 0A8686FA FF015318
	v_mul_f32_dpp v68, v24, v68 row_newbcast:0 row_mask:0xf bank_mask:0xf// 00000000B544: 0A8888FA FF015018
	v_mul_f32_dpp v69, v24, v69 row_newbcast:1 row_mask:0xf bank_mask:0xf// 00000000B54C: 0A8A8AFA FF015118
	v_mul_f32_dpp v70, v24, v70 row_newbcast:2 row_mask:0xf bank_mask:0xf// 00000000B554: 0A8C8CFA FF015218
	v_mul_f32_dpp v71, v24, v71 row_newbcast:3 row_mask:0xf bank_mask:0xf// 00000000B55C: 0A8E8EFA FF015318
	v_mul_f32_dpp v72, v24, v72 row_newbcast:0 row_mask:0xf bank_mask:0xf// 00000000B564: 0A9090FA FF015018
	v_mul_f32_dpp v73, v24, v73 row_newbcast:1 row_mask:0xf bank_mask:0xf// 00000000B56C: 0A9292FA FF015118
	v_mul_f32_dpp v74, v24, v74 row_newbcast:2 row_mask:0xf bank_mask:0xf// 00000000B574: 0A9494FA FF015218
	v_mul_f32_dpp v75, v24, v75 row_newbcast:3 row_mask:0xf bank_mask:0xf// 00000000B57C: 0A9696FA FF015318
	v_mul_f32_dpp v76, v24, v76 row_newbcast:4 row_mask:0xf bank_mask:0xf// 00000000B584: 0A9898FA FF015418
	v_mul_f32_dpp v77, v24, v77 row_newbcast:5 row_mask:0xf bank_mask:0xf// 00000000B58C: 0A9A9AFA FF015518
	v_mul_f32_dpp v78, v24, v78 row_newbcast:6 row_mask:0xf bank_mask:0xf// 00000000B594: 0A9C9CFA FF015618
	v_mul_f32_dpp v79, v24, v79 row_newbcast:7 row_mask:0xf bank_mask:0xf// 00000000B59C: 0A9E9EFA FF015718
	v_mul_f32_dpp v80, v24, v80 row_newbcast:4 row_mask:0xf bank_mask:0xf// 00000000B5A4: 0AA0A0FA FF015418
	v_mul_f32_dpp v81, v24, v81 row_newbcast:5 row_mask:0xf bank_mask:0xf// 00000000B5AC: 0AA2A2FA FF015518
	v_mul_f32_dpp v82, v24, v82 row_newbcast:6 row_mask:0xf bank_mask:0xf// 00000000B5B4: 0AA4A4FA FF015618
	v_mul_f32_dpp v83, v24, v83 row_newbcast:7 row_mask:0xf bank_mask:0xf// 00000000B5BC: 0AA6A6FA FF015718
	v_mul_f32_dpp v84, v24, v84 row_newbcast:4 row_mask:0xf bank_mask:0xf// 00000000B5C4: 0AA8A8FA FF015418
	v_mul_f32_dpp v85, v24, v85 row_newbcast:5 row_mask:0xf bank_mask:0xf// 00000000B5CC: 0AAAAAFA FF015518
	v_mul_f32_dpp v86, v24, v86 row_newbcast:6 row_mask:0xf bank_mask:0xf// 00000000B5D4: 0AACACFA FF015618
	v_mul_f32_dpp v87, v24, v87 row_newbcast:7 row_mask:0xf bank_mask:0xf// 00000000B5DC: 0AAEAEFA FF015718
	v_mul_f32_dpp v88, v24, v88 row_newbcast:4 row_mask:0xf bank_mask:0xf// 00000000B5E4: 0AB0B0FA FF015418
	v_mul_f32_dpp v89, v24, v89 row_newbcast:5 row_mask:0xf bank_mask:0xf// 00000000B5EC: 0AB2B2FA FF015518
	v_mul_f32_dpp v90, v24, v90 row_newbcast:6 row_mask:0xf bank_mask:0xf// 00000000B5F4: 0AB4B4FA FF015618
	v_mul_f32_dpp v91, v24, v91 row_newbcast:7 row_mask:0xf bank_mask:0xf// 00000000B5FC: 0AB6B6FA FF015718
	v_mul_f32_dpp v92, v24, v92 row_newbcast:8 row_mask:0xf bank_mask:0xf// 00000000B604: 0AB8B8FA FF015818
	v_mul_f32_dpp v93, v24, v93 row_newbcast:9 row_mask:0xf bank_mask:0xf// 00000000B60C: 0ABABAFA FF015918
	v_mul_f32_dpp v94, v24, v94 row_newbcast:10 row_mask:0xf bank_mask:0xf// 00000000B614: 0ABCBCFA FF015A18
	v_mul_f32_dpp v95, v24, v95 row_newbcast:11 row_mask:0xf bank_mask:0xf// 00000000B61C: 0ABEBEFA FF015B18
	v_mul_f32_dpp v96, v24, v96 row_newbcast:8 row_mask:0xf bank_mask:0xf// 00000000B624: 0AC0C0FA FF015818
	v_mul_f32_dpp v97, v24, v97 row_newbcast:9 row_mask:0xf bank_mask:0xf// 00000000B62C: 0AC2C2FA FF015918
	v_mul_f32_dpp v98, v24, v98 row_newbcast:10 row_mask:0xf bank_mask:0xf// 00000000B634: 0AC4C4FA FF015A18
	v_mul_f32_dpp v99, v24, v99 row_newbcast:11 row_mask:0xf bank_mask:0xf// 00000000B63C: 0AC6C6FA FF015B18
	v_mul_f32_dpp v100, v24, v100 row_newbcast:8 row_mask:0xf bank_mask:0xf// 00000000B644: 0AC8C8FA FF015818
	v_mul_f32_dpp v101, v24, v101 row_newbcast:9 row_mask:0xf bank_mask:0xf// 00000000B64C: 0ACACAFA FF015918
	v_mul_f32_dpp v102, v24, v102 row_newbcast:10 row_mask:0xf bank_mask:0xf// 00000000B654: 0ACCCCFA FF015A18
	v_mul_f32_dpp v103, v24, v103 row_newbcast:11 row_mask:0xf bank_mask:0xf// 00000000B65C: 0ACECEFA FF015B18
	v_mul_f32_dpp v104, v24, v104 row_newbcast:8 row_mask:0xf bank_mask:0xf// 00000000B664: 0AD0D0FA FF015818
	v_mul_f32_dpp v105, v24, v105 row_newbcast:9 row_mask:0xf bank_mask:0xf// 00000000B66C: 0AD2D2FA FF015918
	v_mul_f32_dpp v106, v24, v106 row_newbcast:10 row_mask:0xf bank_mask:0xf// 00000000B674: 0AD4D4FA FF015A18
	v_mul_f32_dpp v107, v24, v107 row_newbcast:11 row_mask:0xf bank_mask:0xf// 00000000B67C: 0AD6D6FA FF015B18
	v_mul_f32_dpp v108, v24, v108 row_newbcast:12 row_mask:0xf bank_mask:0xf// 00000000B684: 0AD8D8FA FF015C18
	v_mul_f32_dpp v109, v24, v109 row_newbcast:13 row_mask:0xf bank_mask:0xf// 00000000B68C: 0ADADAFA FF015D18
	v_mul_f32_dpp v110, v24, v110 row_newbcast:14 row_mask:0xf bank_mask:0xf// 00000000B694: 0ADCDCFA FF015E18
	v_mul_f32_dpp v111, v24, v111 row_newbcast:15 row_mask:0xf bank_mask:0xf// 00000000B69C: 0ADEDEFA FF015F18
	v_mul_f32_dpp v112, v24, v112 row_newbcast:12 row_mask:0xf bank_mask:0xf// 00000000B6A4: 0AE0E0FA FF015C18
	v_mul_f32_dpp v113, v24, v113 row_newbcast:13 row_mask:0xf bank_mask:0xf// 00000000B6AC: 0AE2E2FA FF015D18
	v_mul_f32_dpp v114, v24, v114 row_newbcast:14 row_mask:0xf bank_mask:0xf// 00000000B6B4: 0AE4E4FA FF015E18
	v_mul_f32_dpp v115, v24, v115 row_newbcast:15 row_mask:0xf bank_mask:0xf// 00000000B6BC: 0AE6E6FA FF015F18
	v_mul_f32_dpp v116, v24, v116 row_newbcast:12 row_mask:0xf bank_mask:0xf// 00000000B6C4: 0AE8E8FA FF015C18
	v_mul_f32_dpp v117, v24, v117 row_newbcast:13 row_mask:0xf bank_mask:0xf// 00000000B6CC: 0AEAEAFA FF015D18
	v_mul_f32_dpp v118, v24, v118 row_newbcast:14 row_mask:0xf bank_mask:0xf// 00000000B6D4: 0AECECFA FF015E18
	v_mul_f32_dpp v119, v24, v119 row_newbcast:15 row_mask:0xf bank_mask:0xf// 00000000B6DC: 0AEEEEFA FF015F18
	v_mul_f32_dpp v120, v24, v120 row_newbcast:12 row_mask:0xf bank_mask:0xf// 00000000B6E4: 0AF0F0FA FF015C18
	v_mul_f32_dpp v121, v24, v121 row_newbcast:13 row_mask:0xf bank_mask:0xf// 00000000B6EC: 0AF2F2FA FF015D18
	v_mul_f32_dpp v122, v24, v122 row_newbcast:14 row_mask:0xf bank_mask:0xf// 00000000B6F4: 0AF4F4FA FF015E18
	v_mul_f32_dpp v123, v24, v123 row_newbcast:15 row_mask:0xf bank_mask:0xf// 00000000B6FC: 0AF6F6FA FF015F18
	v_mul_f32_dpp v124, v27, v124 row_newbcast:0 row_mask:0xf bank_mask:0xf// 00000000B704: 0AF8F8FA FF01501B
	v_mul_f32_dpp v125, v27, v125 row_newbcast:1 row_mask:0xf bank_mask:0xf// 00000000B70C: 0AFAFAFA FF01511B
	v_mul_f32_dpp v126, v27, v126 row_newbcast:2 row_mask:0xf bank_mask:0xf// 00000000B714: 0AFCFCFA FF01521B
	v_mul_f32_dpp v127, v27, v127 row_newbcast:3 row_mask:0xf bank_mask:0xf// 00000000B71C: 0AFEFEFA FF01531B
	v_mul_f32_dpp v128, v27, v128 row_newbcast:0 row_mask:0xf bank_mask:0xf// 00000000B724: 0B0100FA FF01501B
	v_mul_f32_dpp v129, v27, v129 row_newbcast:1 row_mask:0xf bank_mask:0xf// 00000000B72C: 0B0302FA FF01511B
	v_mul_f32_dpp v130, v27, v130 row_newbcast:2 row_mask:0xf bank_mask:0xf// 00000000B734: 0B0504FA FF01521B
	v_mul_f32_dpp v131, v27, v131 row_newbcast:3 row_mask:0xf bank_mask:0xf// 00000000B73C: 0B0706FA FF01531B
	v_mul_f32_dpp v132, v27, v132 row_newbcast:0 row_mask:0xf bank_mask:0xf// 00000000B744: 0B0908FA FF01501B
	v_mul_f32_dpp v133, v27, v133 row_newbcast:1 row_mask:0xf bank_mask:0xf// 00000000B74C: 0B0B0AFA FF01511B
	v_mul_f32_dpp v134, v27, v134 row_newbcast:2 row_mask:0xf bank_mask:0xf// 00000000B754: 0B0D0CFA FF01521B
	v_mul_f32_dpp v135, v27, v135 row_newbcast:3 row_mask:0xf bank_mask:0xf// 00000000B75C: 0B0F0EFA FF01531B
	v_mul_f32_dpp v136, v27, v136 row_newbcast:0 row_mask:0xf bank_mask:0xf// 00000000B764: 0B1110FA FF01501B
	v_mul_f32_dpp v137, v27, v137 row_newbcast:1 row_mask:0xf bank_mask:0xf// 00000000B76C: 0B1312FA FF01511B
	v_mul_f32_dpp v138, v27, v138 row_newbcast:2 row_mask:0xf bank_mask:0xf// 00000000B774: 0B1514FA FF01521B
	v_mul_f32_dpp v139, v27, v139 row_newbcast:3 row_mask:0xf bank_mask:0xf// 00000000B77C: 0B1716FA FF01531B
	v_mul_f32_dpp v140, v27, v140 row_newbcast:4 row_mask:0xf bank_mask:0xf// 00000000B784: 0B1918FA FF01541B
	v_mul_f32_dpp v141, v27, v141 row_newbcast:5 row_mask:0xf bank_mask:0xf// 00000000B78C: 0B1B1AFA FF01551B
	v_mul_f32_dpp v142, v27, v142 row_newbcast:6 row_mask:0xf bank_mask:0xf// 00000000B794: 0B1D1CFA FF01561B
	v_mul_f32_dpp v143, v27, v143 row_newbcast:7 row_mask:0xf bank_mask:0xf// 00000000B79C: 0B1F1EFA FF01571B
	v_mul_f32_dpp v144, v27, v144 row_newbcast:4 row_mask:0xf bank_mask:0xf// 00000000B7A4: 0B2120FA FF01541B
	v_mul_f32_dpp v145, v27, v145 row_newbcast:5 row_mask:0xf bank_mask:0xf// 00000000B7AC: 0B2322FA FF01551B
	v_mul_f32_dpp v146, v27, v146 row_newbcast:6 row_mask:0xf bank_mask:0xf// 00000000B7B4: 0B2524FA FF01561B
	v_mul_f32_dpp v147, v27, v147 row_newbcast:7 row_mask:0xf bank_mask:0xf// 00000000B7BC: 0B2726FA FF01571B
	v_mul_f32_dpp v148, v27, v148 row_newbcast:4 row_mask:0xf bank_mask:0xf// 00000000B7C4: 0B2928FA FF01541B
	v_mul_f32_dpp v149, v27, v149 row_newbcast:5 row_mask:0xf bank_mask:0xf// 00000000B7CC: 0B2B2AFA FF01551B
	v_mul_f32_dpp v150, v27, v150 row_newbcast:6 row_mask:0xf bank_mask:0xf// 00000000B7D4: 0B2D2CFA FF01561B
	v_mul_f32_dpp v151, v27, v151 row_newbcast:7 row_mask:0xf bank_mask:0xf// 00000000B7DC: 0B2F2EFA FF01571B
	v_mul_f32_dpp v152, v27, v152 row_newbcast:4 row_mask:0xf bank_mask:0xf// 00000000B7E4: 0B3130FA FF01541B
	v_mul_f32_dpp v153, v27, v153 row_newbcast:5 row_mask:0xf bank_mask:0xf// 00000000B7EC: 0B3332FA FF01551B
	v_mul_f32_dpp v154, v27, v154 row_newbcast:6 row_mask:0xf bank_mask:0xf// 00000000B7F4: 0B3534FA FF01561B
	v_mul_f32_dpp v155, v27, v155 row_newbcast:7 row_mask:0xf bank_mask:0xf// 00000000B7FC: 0B3736FA FF01571B
	v_mul_f32_dpp v156, v27, v156 row_newbcast:8 row_mask:0xf bank_mask:0xf// 00000000B804: 0B3938FA FF01581B
	v_mul_f32_dpp v157, v27, v157 row_newbcast:9 row_mask:0xf bank_mask:0xf// 00000000B80C: 0B3B3AFA FF01591B
	v_mul_f32_dpp v158, v27, v158 row_newbcast:10 row_mask:0xf bank_mask:0xf// 00000000B814: 0B3D3CFA FF015A1B
	v_mul_f32_dpp v159, v27, v159 row_newbcast:11 row_mask:0xf bank_mask:0xf// 00000000B81C: 0B3F3EFA FF015B1B
	v_mul_f32_dpp v160, v27, v160 row_newbcast:8 row_mask:0xf bank_mask:0xf// 00000000B824: 0B4140FA FF01581B
	v_mul_f32_dpp v161, v27, v161 row_newbcast:9 row_mask:0xf bank_mask:0xf// 00000000B82C: 0B4342FA FF01591B
	v_mul_f32_dpp v162, v27, v162 row_newbcast:10 row_mask:0xf bank_mask:0xf// 00000000B834: 0B4544FA FF015A1B
	v_mul_f32_dpp v163, v27, v163 row_newbcast:11 row_mask:0xf bank_mask:0xf// 00000000B83C: 0B4746FA FF015B1B
	v_mul_f32_dpp v164, v27, v164 row_newbcast:8 row_mask:0xf bank_mask:0xf// 00000000B844: 0B4948FA FF01581B
	v_mul_f32_dpp v165, v27, v165 row_newbcast:9 row_mask:0xf bank_mask:0xf// 00000000B84C: 0B4B4AFA FF01591B
	v_mul_f32_dpp v166, v27, v166 row_newbcast:10 row_mask:0xf bank_mask:0xf// 00000000B854: 0B4D4CFA FF015A1B
	v_mul_f32_dpp v167, v27, v167 row_newbcast:11 row_mask:0xf bank_mask:0xf// 00000000B85C: 0B4F4EFA FF015B1B
	v_mul_f32_dpp v168, v27, v168 row_newbcast:8 row_mask:0xf bank_mask:0xf// 00000000B864: 0B5150FA FF01581B
	v_mul_f32_dpp v169, v27, v169 row_newbcast:9 row_mask:0xf bank_mask:0xf// 00000000B86C: 0B5352FA FF01591B
	v_mul_f32_dpp v170, v27, v170 row_newbcast:10 row_mask:0xf bank_mask:0xf// 00000000B874: 0B5554FA FF015A1B
	v_mul_f32_dpp v171, v27, v171 row_newbcast:11 row_mask:0xf bank_mask:0xf// 00000000B87C: 0B5756FA FF015B1B
	v_mul_f32_dpp v172, v27, v172 row_newbcast:12 row_mask:0xf bank_mask:0xf// 00000000B884: 0B5958FA FF015C1B
	v_mul_f32_dpp v173, v27, v173 row_newbcast:13 row_mask:0xf bank_mask:0xf// 00000000B88C: 0B5B5AFA FF015D1B
	v_mul_f32_dpp v174, v27, v174 row_newbcast:14 row_mask:0xf bank_mask:0xf// 00000000B894: 0B5D5CFA FF015E1B
	v_mul_f32_dpp v175, v27, v175 row_newbcast:15 row_mask:0xf bank_mask:0xf// 00000000B89C: 0B5F5EFA FF015F1B
	v_mul_f32_dpp v176, v27, v176 row_newbcast:12 row_mask:0xf bank_mask:0xf// 00000000B8A4: 0B6160FA FF015C1B
	v_mul_f32_dpp v177, v27, v177 row_newbcast:13 row_mask:0xf bank_mask:0xf// 00000000B8AC: 0B6362FA FF015D1B
	v_mul_f32_dpp v178, v27, v178 row_newbcast:14 row_mask:0xf bank_mask:0xf// 00000000B8B4: 0B6564FA FF015E1B
	v_mul_f32_dpp v179, v27, v179 row_newbcast:15 row_mask:0xf bank_mask:0xf// 00000000B8BC: 0B6766FA FF015F1B
	v_mul_f32_dpp v180, v27, v180 row_newbcast:12 row_mask:0xf bank_mask:0xf// 00000000B8C4: 0B6968FA FF015C1B
	v_mul_f32_dpp v181, v27, v181 row_newbcast:13 row_mask:0xf bank_mask:0xf// 00000000B8CC: 0B6B6AFA FF015D1B
	v_mul_f32_dpp v182, v27, v182 row_newbcast:14 row_mask:0xf bank_mask:0xf// 00000000B8D4: 0B6D6CFA FF015E1B
	v_mul_f32_dpp v183, v27, v183 row_newbcast:15 row_mask:0xf bank_mask:0xf// 00000000B8DC: 0B6F6EFA FF015F1B
	v_mul_f32_dpp v184, v27, v184 row_newbcast:12 row_mask:0xf bank_mask:0xf// 00000000B8E4: 0B7170FA FF015C1B
	v_mul_f32_dpp v185, v27, v185 row_newbcast:13 row_mask:0xf bank_mask:0xf// 00000000B8EC: 0B7372FA FF015D1B
	v_mul_f32_dpp v186, v27, v186 row_newbcast:14 row_mask:0xf bank_mask:0xf// 00000000B8F4: 0B7574FA FF015E1B
	v_mul_f32_dpp v187, v27, v187 row_newbcast:15 row_mask:0xf bank_mask:0xf// 00000000B8FC: 0B7776FA FF015F1B
	v_mul_f32_e32 v34, v34, v188                               // 00000000B904: 0A457922
	v_mov_b32_e32 v4, v34                                      // 00000000B908: 7E080322
	v_mov_b32_e32 v5, v4                                       // 00000000B90C: 7E0A0304
	v_pk_mul_f32 v[60:61], v[4:5], v[60:61]                    // 00000000B910: D3B1403C 18027904
	v_pk_mul_f32 v[124:125], v[4:5], v[124:125]                // 00000000B918: D3B1407C 1802F904
	v_pk_mul_f32 v[62:63], v[4:5], v[62:63]                    // 00000000B920: D3B1403E 18027D04
	v_pk_mul_f32 v[126:127], v[4:5], v[126:127]                // 00000000B928: D3B1407E 1802FD04
	v_pk_mul_f32 v[76:77], v[4:5], v[76:77]                    // 00000000B930: D3B1404C 18029904
	v_pk_mul_f32 v[140:141], v[4:5], v[140:141]                // 00000000B938: D3B1408C 18031904
	v_pk_mul_f32 v[78:79], v[4:5], v[78:79]                    // 00000000B940: D3B1404E 18029D04
	v_pk_mul_f32 v[142:143], v[4:5], v[142:143]                // 00000000B948: D3B1408E 18031D04
	v_pk_mul_f32 v[92:93], v[4:5], v[92:93]                    // 00000000B950: D3B1405C 1802B904
	v_pk_mul_f32 v[156:157], v[4:5], v[156:157]                // 00000000B958: D3B1409C 18033904
	v_pk_mul_f32 v[94:95], v[4:5], v[94:95]                    // 00000000B960: D3B1405E 1802BD04
	v_pk_mul_f32 v[158:159], v[4:5], v[158:159]                // 00000000B968: D3B1409E 18033D04
	v_pk_mul_f32 v[108:109], v[4:5], v[108:109]                // 00000000B970: D3B1406C 1802D904
	v_pk_mul_f32 v[172:173], v[4:5], v[172:173]                // 00000000B978: D3B140AC 18035904
	v_pk_mul_f32 v[110:111], v[4:5], v[110:111]                // 00000000B980: D3B1406E 1802DD04
	v_pk_mul_f32 v[174:175], v[4:5], v[174:175]                // 00000000B988: D3B140AE 18035D04
	v_mul_f32_e32 v35, v35, v189                               // 00000000B990: 0A477B23
	v_mov_b32_e32 v4, v35                                      // 00000000B994: 7E080323
	v_mov_b32_e32 v5, v4                                       // 00000000B998: 7E0A0304
	v_pk_mul_f32 v[64:65], v[4:5], v[64:65]                    // 00000000B99C: D3B14040 18028104
	v_pk_mul_f32 v[128:129], v[4:5], v[128:129]                // 00000000B9A4: D3B14080 18030104
	v_pk_mul_f32 v[66:67], v[4:5], v[66:67]                    // 00000000B9AC: D3B14042 18028504
	v_pk_mul_f32 v[130:131], v[4:5], v[130:131]                // 00000000B9B4: D3B14082 18030504
	v_pk_mul_f32 v[80:81], v[4:5], v[80:81]                    // 00000000B9BC: D3B14050 1802A104
	v_pk_mul_f32 v[144:145], v[4:5], v[144:145]                // 00000000B9C4: D3B14090 18032104
	v_pk_mul_f32 v[82:83], v[4:5], v[82:83]                    // 00000000B9CC: D3B14052 1802A504
	v_pk_mul_f32 v[146:147], v[4:5], v[146:147]                // 00000000B9D4: D3B14092 18032504
	v_pk_mul_f32 v[96:97], v[4:5], v[96:97]                    // 00000000B9DC: D3B14060 1802C104
	v_pk_mul_f32 v[160:161], v[4:5], v[160:161]                // 00000000B9E4: D3B140A0 18034104
	v_pk_mul_f32 v[98:99], v[4:5], v[98:99]                    // 00000000B9EC: D3B14062 1802C504
	v_pk_mul_f32 v[162:163], v[4:5], v[162:163]                // 00000000B9F4: D3B140A2 18034504
	v_pk_mul_f32 v[112:113], v[4:5], v[112:113]                // 00000000B9FC: D3B14070 1802E104
	v_pk_mul_f32 v[176:177], v[4:5], v[176:177]                // 00000000BA04: D3B140B0 18036104
	v_pk_mul_f32 v[114:115], v[4:5], v[114:115]                // 00000000BA0C: D3B14072 1802E504
	v_pk_mul_f32 v[178:179], v[4:5], v[178:179]                // 00000000BA14: D3B140B2 18036504
	v_mul_f32_e32 v36, v36, v190                               // 00000000BA1C: 0A497D24
	v_mov_b32_e32 v4, v36                                      // 00000000BA20: 7E080324
	v_mov_b32_e32 v5, v4                                       // 00000000BA24: 7E0A0304
	v_pk_mul_f32 v[68:69], v[4:5], v[68:69]                    // 00000000BA28: D3B14044 18028904
	v_pk_mul_f32 v[132:133], v[4:5], v[132:133]                // 00000000BA30: D3B14084 18030904
	v_pk_mul_f32 v[70:71], v[4:5], v[70:71]                    // 00000000BA38: D3B14046 18028D04
	v_pk_mul_f32 v[134:135], v[4:5], v[134:135]                // 00000000BA40: D3B14086 18030D04
	v_pk_mul_f32 v[84:85], v[4:5], v[84:85]                    // 00000000BA48: D3B14054 1802A904
	v_pk_mul_f32 v[148:149], v[4:5], v[148:149]                // 00000000BA50: D3B14094 18032904
	v_pk_mul_f32 v[86:87], v[4:5], v[86:87]                    // 00000000BA58: D3B14056 1802AD04
	v_pk_mul_f32 v[150:151], v[4:5], v[150:151]                // 00000000BA60: D3B14096 18032D04
	v_pk_mul_f32 v[100:101], v[4:5], v[100:101]                // 00000000BA68: D3B14064 1802C904
	v_pk_mul_f32 v[164:165], v[4:5], v[164:165]                // 00000000BA70: D3B140A4 18034904
	v_pk_mul_f32 v[102:103], v[4:5], v[102:103]                // 00000000BA78: D3B14066 1802CD04
	v_pk_mul_f32 v[166:167], v[4:5], v[166:167]                // 00000000BA80: D3B140A6 18034D04
	v_pk_mul_f32 v[116:117], v[4:5], v[116:117]                // 00000000BA88: D3B14074 1802E904
	v_pk_mul_f32 v[180:181], v[4:5], v[180:181]                // 00000000BA90: D3B140B4 18036904
	v_pk_mul_f32 v[118:119], v[4:5], v[118:119]                // 00000000BA98: D3B14076 1802ED04
	v_pk_mul_f32 v[182:183], v[4:5], v[182:183]                // 00000000BAA0: D3B140B6 18036D04
	v_mul_f32_e32 v37, v37, v191                               // 00000000BAA8: 0A4B7F25
	v_mov_b32_e32 v4, v37                                      // 00000000BAAC: 7E080325
	v_mov_b32_e32 v5, v4                                       // 00000000BAB0: 7E0A0304
	v_pk_mul_f32 v[72:73], v[4:5], v[72:73]                    // 00000000BAB4: D3B14048 18029104
	v_pk_mul_f32 v[136:137], v[4:5], v[136:137]                // 00000000BABC: D3B14088 18031104
	v_pk_mul_f32 v[74:75], v[4:5], v[74:75]                    // 00000000BAC4: D3B1404A 18029504
	v_pk_mul_f32 v[138:139], v[4:5], v[138:139]                // 00000000BACC: D3B1408A 18031504
	v_pk_mul_f32 v[88:89], v[4:5], v[88:89]                    // 00000000BAD4: D3B14058 1802B104
	v_pk_mul_f32 v[152:153], v[4:5], v[152:153]                // 00000000BADC: D3B14098 18033104
	v_pk_mul_f32 v[90:91], v[4:5], v[90:91]                    // 00000000BAE4: D3B1405A 1802B504
	v_pk_mul_f32 v[154:155], v[4:5], v[154:155]                // 00000000BAEC: D3B1409A 18033504
	v_pk_mul_f32 v[104:105], v[4:5], v[104:105]                // 00000000BAF4: D3B14068 1802D104
	v_pk_mul_f32 v[168:169], v[4:5], v[168:169]                // 00000000BAFC: D3B140A8 18035104
	v_pk_mul_f32 v[106:107], v[4:5], v[106:107]                // 00000000BB04: D3B1406A 1802D504
	v_pk_mul_f32 v[170:171], v[4:5], v[170:171]                // 00000000BB0C: D3B140AA 18035504
	v_pk_mul_f32 v[120:121], v[4:5], v[120:121]                // 00000000BB14: D3B14078 1802F104
	v_pk_mul_f32 v[184:185], v[4:5], v[184:185]                // 00000000BB1C: D3B140B8 18037104
	v_pk_mul_f32 v[122:123], v[4:5], v[122:123]                // 00000000BB24: D3B1407A 1802F504
	v_pk_mul_f32 v[186:187], v[4:5], v[186:187]                // 00000000BB2C: D3B140BA 18037504
	s_cmp_eq_u32 s88, 0                                        // 00000000BB34: BF068058
	s_cbranch_scc0 label_2C83                                  // 00000000BB38: BF840831
	s_cmp_eq_u32 s89, 0                                        // 00000000BB3C: BF068059
	s_cbranch_scc1 label_26D9                                  // 00000000BB40: BF850285
	v_mov_b32_e32 v8, v1                                       // 00000000BB44: 7E100301
	v_mov_b32_e32 v9, v1                                       // 00000000BB48: 7E120301
	s_mov_b32 s60, s6                                          // 00000000BB4C: BEBC0006
	s_mov_b32 s61, s6                                          // 00000000BB50: BEBD0006
	v_pk_mul_f32 v[4:5], v[60:61], v[60:61]                    // 00000000BB54: D3B14004 1802793C
	v_pk_mul_f32 v[6:7], v[62:63], v[62:63]                    // 00000000BB5C: D3B14006 18027D3E
	v_pk_fma_f32 v[4:5], v[4:5], s[78:79], v[8:9]              // 00000000BB64: D3B04004 1C209D04
	v_pk_fma_f32 v[6:7], v[6:7], s[78:79], v[8:9]              // 00000000BB6C: D3B04006 1C209D06
	v_pk_mul_f32 v[4:5], v[4:5], v[60:61]                      // 00000000BB74: D3B14004 18027904
	v_pk_mul_f32 v[6:7], v[6:7], v[62:63]                      // 00000000BB7C: D3B14006 18027D06
	v_pk_mul_f32 v[4:5], v[4:5], s[60:61]                      // 00000000BB84: D3B14004 18007904
	v_pk_mul_f32 v[6:7], v[6:7], s[60:61]                      // 00000000BB8C: D3B14006 18007906
	v_exp_f32_e32 v4, v4                                       // 00000000BB94: 7E084104
	v_exp_f32_e32 v5, v5                                       // 00000000BB98: 7E0A4105
	v_exp_f32_e32 v6, v6                                       // 00000000BB9C: 7E0C4106
	v_exp_f32_e32 v7, v7                                       // 00000000BBA0: 7E0E4107
	v_add_f32_e64 v4, v4, 1.0                                  // 00000000BBA4: D1010004 0001E504
	v_add_f32_e64 v5, v5, 1.0                                  // 00000000BBAC: D1010005 0001E505
	v_add_f32_e64 v6, v6, 1.0                                  // 00000000BBB4: D1010006 0001E506
	v_add_f32_e64 v7, v7, 1.0                                  // 00000000BBBC: D1010007 0001E507
	v_rcp_f32_e32 v4, v4                                       // 00000000BBC4: 7E084504
	v_rcp_f32_e32 v5, v5                                       // 00000000BBC8: 7E0A4505
	v_rcp_f32_e32 v6, v6                                       // 00000000BBCC: 7E0C4506
	v_rcp_f32_e32 v7, v7                                       // 00000000BBD0: 7E0E4507
	v_mul_f32_e32 v60, v60, v4                                 // 00000000BBD4: 0A78093C
	v_mul_f32_e32 v61, v61, v5                                 // 00000000BBD8: 0A7A0B3D
	v_mul_f32_e32 v62, v62, v6                                 // 00000000BBDC: 0A7C0D3E
	v_mul_f32_e32 v63, v63, v7                                 // 00000000BBE0: 0A7E0F3F
	v_mul_f32_e32 v60, v60, v124                               // 00000000BBE4: 0A78F93C
	v_mul_f32_e32 v61, v61, v125                               // 00000000BBE8: 0A7AFB3D
	v_mul_f32_e32 v62, v62, v126                               // 00000000BBEC: 0A7CFD3E
	v_mul_f32_e32 v63, v63, v127                               // 00000000BBF0: 0A7EFF3F
	v_pk_mul_f32 v[4:5], v[64:65], v[64:65]                    // 00000000BBF4: D3B14004 18028140
	v_pk_mul_f32 v[6:7], v[66:67], v[66:67]                    // 00000000BBFC: D3B14006 18028542
	v_pk_fma_f32 v[4:5], v[4:5], s[78:79], v[8:9]              // 00000000BC04: D3B04004 1C209D04
	v_pk_fma_f32 v[6:7], v[6:7], s[78:79], v[8:9]              // 00000000BC0C: D3B04006 1C209D06
	v_pk_mul_f32 v[4:5], v[4:5], v[64:65]                      // 00000000BC14: D3B14004 18028104
	v_pk_mul_f32 v[6:7], v[6:7], v[66:67]                      // 00000000BC1C: D3B14006 18028506
	v_pk_mul_f32 v[4:5], v[4:5], s[60:61]                      // 00000000BC24: D3B14004 18007904
	v_pk_mul_f32 v[6:7], v[6:7], s[60:61]                      // 00000000BC2C: D3B14006 18007906
	v_exp_f32_e32 v4, v4                                       // 00000000BC34: 7E084104
	v_exp_f32_e32 v5, v5                                       // 00000000BC38: 7E0A4105
	v_exp_f32_e32 v6, v6                                       // 00000000BC3C: 7E0C4106
	v_exp_f32_e32 v7, v7                                       // 00000000BC40: 7E0E4107
	v_add_f32_e64 v4, v4, 1.0                                  // 00000000BC44: D1010004 0001E504
	v_add_f32_e64 v5, v5, 1.0                                  // 00000000BC4C: D1010005 0001E505
	v_add_f32_e64 v6, v6, 1.0                                  // 00000000BC54: D1010006 0001E506
	v_add_f32_e64 v7, v7, 1.0                                  // 00000000BC5C: D1010007 0001E507
	v_rcp_f32_e32 v4, v4                                       // 00000000BC64: 7E084504
	v_rcp_f32_e32 v5, v5                                       // 00000000BC68: 7E0A4505
	v_rcp_f32_e32 v6, v6                                       // 00000000BC6C: 7E0C4506
	v_rcp_f32_e32 v7, v7                                       // 00000000BC70: 7E0E4507
	v_mul_f32_e32 v64, v64, v4                                 // 00000000BC74: 0A800940
	v_mul_f32_e32 v65, v65, v5                                 // 00000000BC78: 0A820B41
	v_mul_f32_e32 v66, v66, v6                                 // 00000000BC7C: 0A840D42
	v_mul_f32_e32 v67, v67, v7                                 // 00000000BC80: 0A860F43
	v_mul_f32_e32 v64, v64, v128                               // 00000000BC84: 0A810140
	v_mul_f32_e32 v65, v65, v129                               // 00000000BC88: 0A830341
	v_mul_f32_e32 v66, v66, v130                               // 00000000BC8C: 0A850542
	v_mul_f32_e32 v67, v67, v131                               // 00000000BC90: 0A870743
	v_pk_mul_f32 v[4:5], v[68:69], v[68:69]                    // 00000000BC94: D3B14004 18028944
	v_pk_mul_f32 v[6:7], v[70:71], v[70:71]                    // 00000000BC9C: D3B14006 18028D46
	v_pk_fma_f32 v[4:5], v[4:5], s[78:79], v[8:9]              // 00000000BCA4: D3B04004 1C209D04
	v_pk_fma_f32 v[6:7], v[6:7], s[78:79], v[8:9]              // 00000000BCAC: D3B04006 1C209D06
	v_pk_mul_f32 v[4:5], v[4:5], v[68:69]                      // 00000000BCB4: D3B14004 18028904
	v_pk_mul_f32 v[6:7], v[6:7], v[70:71]                      // 00000000BCBC: D3B14006 18028D06
	v_pk_mul_f32 v[4:5], v[4:5], s[60:61]                      // 00000000BCC4: D3B14004 18007904
	v_pk_mul_f32 v[6:7], v[6:7], s[60:61]                      // 00000000BCCC: D3B14006 18007906
	v_exp_f32_e32 v4, v4                                       // 00000000BCD4: 7E084104
	v_exp_f32_e32 v5, v5                                       // 00000000BCD8: 7E0A4105
	v_exp_f32_e32 v6, v6                                       // 00000000BCDC: 7E0C4106
	v_exp_f32_e32 v7, v7                                       // 00000000BCE0: 7E0E4107
	v_add_f32_e64 v4, v4, 1.0                                  // 00000000BCE4: D1010004 0001E504
	v_add_f32_e64 v5, v5, 1.0                                  // 00000000BCEC: D1010005 0001E505
	v_add_f32_e64 v6, v6, 1.0                                  // 00000000BCF4: D1010006 0001E506
	v_add_f32_e64 v7, v7, 1.0                                  // 00000000BCFC: D1010007 0001E507
	v_rcp_f32_e32 v4, v4                                       // 00000000BD04: 7E084504
	v_rcp_f32_e32 v5, v5                                       // 00000000BD08: 7E0A4505
	v_rcp_f32_e32 v6, v6                                       // 00000000BD0C: 7E0C4506
	v_rcp_f32_e32 v7, v7                                       // 00000000BD10: 7E0E4507
	v_mul_f32_e32 v68, v68, v4                                 // 00000000BD14: 0A880944
	v_mul_f32_e32 v69, v69, v5                                 // 00000000BD18: 0A8A0B45
	v_mul_f32_e32 v70, v70, v6                                 // 00000000BD1C: 0A8C0D46
	v_mul_f32_e32 v71, v71, v7                                 // 00000000BD20: 0A8E0F47
	v_mul_f32_e32 v68, v68, v132                               // 00000000BD24: 0A890944
	v_mul_f32_e32 v69, v69, v133                               // 00000000BD28: 0A8B0B45
	v_mul_f32_e32 v70, v70, v134                               // 00000000BD2C: 0A8D0D46
	v_mul_f32_e32 v71, v71, v135                               // 00000000BD30: 0A8F0F47
	v_pk_mul_f32 v[4:5], v[72:73], v[72:73]                    // 00000000BD34: D3B14004 18029148
	v_pk_mul_f32 v[6:7], v[74:75], v[74:75]                    // 00000000BD3C: D3B14006 1802954A
	v_pk_fma_f32 v[4:5], v[4:5], s[78:79], v[8:9]              // 00000000BD44: D3B04004 1C209D04
	v_pk_fma_f32 v[6:7], v[6:7], s[78:79], v[8:9]              // 00000000BD4C: D3B04006 1C209D06
	v_pk_mul_f32 v[4:5], v[4:5], v[72:73]                      // 00000000BD54: D3B14004 18029104
	v_pk_mul_f32 v[6:7], v[6:7], v[74:75]                      // 00000000BD5C: D3B14006 18029506
	v_pk_mul_f32 v[4:5], v[4:5], s[60:61]                      // 00000000BD64: D3B14004 18007904
	v_pk_mul_f32 v[6:7], v[6:7], s[60:61]                      // 00000000BD6C: D3B14006 18007906
	v_exp_f32_e32 v4, v4                                       // 00000000BD74: 7E084104
	v_exp_f32_e32 v5, v5                                       // 00000000BD78: 7E0A4105
	v_exp_f32_e32 v6, v6                                       // 00000000BD7C: 7E0C4106
	v_exp_f32_e32 v7, v7                                       // 00000000BD80: 7E0E4107
	v_add_f32_e64 v4, v4, 1.0                                  // 00000000BD84: D1010004 0001E504
	v_add_f32_e64 v5, v5, 1.0                                  // 00000000BD8C: D1010005 0001E505
	v_add_f32_e64 v6, v6, 1.0                                  // 00000000BD94: D1010006 0001E506
	v_add_f32_e64 v7, v7, 1.0                                  // 00000000BD9C: D1010007 0001E507
	v_rcp_f32_e32 v4, v4                                       // 00000000BDA4: 7E084504
	v_rcp_f32_e32 v5, v5                                       // 00000000BDA8: 7E0A4505
	v_rcp_f32_e32 v6, v6                                       // 00000000BDAC: 7E0C4506
	v_rcp_f32_e32 v7, v7                                       // 00000000BDB0: 7E0E4507
	v_mul_f32_e32 v72, v72, v4                                 // 00000000BDB4: 0A900948
	v_mul_f32_e32 v73, v73, v5                                 // 00000000BDB8: 0A920B49
	v_mul_f32_e32 v74, v74, v6                                 // 00000000BDBC: 0A940D4A
	v_mul_f32_e32 v75, v75, v7                                 // 00000000BDC0: 0A960F4B
	v_mul_f32_e32 v72, v72, v136                               // 00000000BDC4: 0A911148
	v_mul_f32_e32 v73, v73, v137                               // 00000000BDC8: 0A931349
	v_mul_f32_e32 v74, v74, v138                               // 00000000BDCC: 0A95154A
	v_mul_f32_e32 v75, v75, v139                               // 00000000BDD0: 0A97174B
	v_pk_mul_f32 v[4:5], v[76:77], v[76:77]                    // 00000000BDD4: D3B14004 1802994C
	v_pk_mul_f32 v[6:7], v[78:79], v[78:79]                    // 00000000BDDC: D3B14006 18029D4E
	v_pk_fma_f32 v[4:5], v[4:5], s[78:79], v[8:9]              // 00000000BDE4: D3B04004 1C209D04
	v_pk_fma_f32 v[6:7], v[6:7], s[78:79], v[8:9]              // 00000000BDEC: D3B04006 1C209D06
	v_pk_mul_f32 v[4:5], v[4:5], v[76:77]                      // 00000000BDF4: D3B14004 18029904
	v_pk_mul_f32 v[6:7], v[6:7], v[78:79]                      // 00000000BDFC: D3B14006 18029D06
	v_pk_mul_f32 v[4:5], v[4:5], s[60:61]                      // 00000000BE04: D3B14004 18007904
	v_pk_mul_f32 v[6:7], v[6:7], s[60:61]                      // 00000000BE0C: D3B14006 18007906
	v_exp_f32_e32 v4, v4                                       // 00000000BE14: 7E084104
	v_exp_f32_e32 v5, v5                                       // 00000000BE18: 7E0A4105
	v_exp_f32_e32 v6, v6                                       // 00000000BE1C: 7E0C4106
	v_exp_f32_e32 v7, v7                                       // 00000000BE20: 7E0E4107
	v_add_f32_e64 v4, v4, 1.0                                  // 00000000BE24: D1010004 0001E504
	v_add_f32_e64 v5, v5, 1.0                                  // 00000000BE2C: D1010005 0001E505
	v_add_f32_e64 v6, v6, 1.0                                  // 00000000BE34: D1010006 0001E506
	v_add_f32_e64 v7, v7, 1.0                                  // 00000000BE3C: D1010007 0001E507
	v_rcp_f32_e32 v4, v4                                       // 00000000BE44: 7E084504
	v_rcp_f32_e32 v5, v5                                       // 00000000BE48: 7E0A4505
	v_rcp_f32_e32 v6, v6                                       // 00000000BE4C: 7E0C4506
	v_rcp_f32_e32 v7, v7                                       // 00000000BE50: 7E0E4507
	v_mul_f32_e32 v76, v76, v4                                 // 00000000BE54: 0A98094C
	v_mul_f32_e32 v77, v77, v5                                 // 00000000BE58: 0A9A0B4D
	v_mul_f32_e32 v78, v78, v6                                 // 00000000BE5C: 0A9C0D4E
	v_mul_f32_e32 v79, v79, v7                                 // 00000000BE60: 0A9E0F4F
	v_mul_f32_e32 v76, v76, v140                               // 00000000BE64: 0A99194C
	v_mul_f32_e32 v77, v77, v141                               // 00000000BE68: 0A9B1B4D
	v_mul_f32_e32 v78, v78, v142                               // 00000000BE6C: 0A9D1D4E
	v_mul_f32_e32 v79, v79, v143                               // 00000000BE70: 0A9F1F4F
	v_pk_mul_f32 v[4:5], v[80:81], v[80:81]                    // 00000000BE74: D3B14004 1802A150
	v_pk_mul_f32 v[6:7], v[82:83], v[82:83]                    // 00000000BE7C: D3B14006 1802A552
	v_pk_fma_f32 v[4:5], v[4:5], s[78:79], v[8:9]              // 00000000BE84: D3B04004 1C209D04
	v_pk_fma_f32 v[6:7], v[6:7], s[78:79], v[8:9]              // 00000000BE8C: D3B04006 1C209D06
	v_pk_mul_f32 v[4:5], v[4:5], v[80:81]                      // 00000000BE94: D3B14004 1802A104
	v_pk_mul_f32 v[6:7], v[6:7], v[82:83]                      // 00000000BE9C: D3B14006 1802A506
	v_pk_mul_f32 v[4:5], v[4:5], s[60:61]                      // 00000000BEA4: D3B14004 18007904
	v_pk_mul_f32 v[6:7], v[6:7], s[60:61]                      // 00000000BEAC: D3B14006 18007906
	v_exp_f32_e32 v4, v4                                       // 00000000BEB4: 7E084104
	v_exp_f32_e32 v5, v5                                       // 00000000BEB8: 7E0A4105
	v_exp_f32_e32 v6, v6                                       // 00000000BEBC: 7E0C4106
	v_exp_f32_e32 v7, v7                                       // 00000000BEC0: 7E0E4107
	v_add_f32_e64 v4, v4, 1.0                                  // 00000000BEC4: D1010004 0001E504
	v_add_f32_e64 v5, v5, 1.0                                  // 00000000BECC: D1010005 0001E505
	v_add_f32_e64 v6, v6, 1.0                                  // 00000000BED4: D1010006 0001E506
	v_add_f32_e64 v7, v7, 1.0                                  // 00000000BEDC: D1010007 0001E507
	v_rcp_f32_e32 v4, v4                                       // 00000000BEE4: 7E084504
	v_rcp_f32_e32 v5, v5                                       // 00000000BEE8: 7E0A4505
	v_rcp_f32_e32 v6, v6                                       // 00000000BEEC: 7E0C4506
	v_rcp_f32_e32 v7, v7                                       // 00000000BEF0: 7E0E4507
	v_mul_f32_e32 v80, v80, v4                                 // 00000000BEF4: 0AA00950
	v_mul_f32_e32 v81, v81, v5                                 // 00000000BEF8: 0AA20B51
	v_mul_f32_e32 v82, v82, v6                                 // 00000000BEFC: 0AA40D52
	v_mul_f32_e32 v83, v83, v7                                 // 00000000BF00: 0AA60F53
	v_mul_f32_e32 v80, v80, v144                               // 00000000BF04: 0AA12150
	v_mul_f32_e32 v81, v81, v145                               // 00000000BF08: 0AA32351
	v_mul_f32_e32 v82, v82, v146                               // 00000000BF0C: 0AA52552
	v_mul_f32_e32 v83, v83, v147                               // 00000000BF10: 0AA72753
	v_pk_mul_f32 v[4:5], v[84:85], v[84:85]                    // 00000000BF14: D3B14004 1802A954
	v_pk_mul_f32 v[6:7], v[86:87], v[86:87]                    // 00000000BF1C: D3B14006 1802AD56
	v_pk_fma_f32 v[4:5], v[4:5], s[78:79], v[8:9]              // 00000000BF24: D3B04004 1C209D04
	v_pk_fma_f32 v[6:7], v[6:7], s[78:79], v[8:9]              // 00000000BF2C: D3B04006 1C209D06
	v_pk_mul_f32 v[4:5], v[4:5], v[84:85]                      // 00000000BF34: D3B14004 1802A904
	v_pk_mul_f32 v[6:7], v[6:7], v[86:87]                      // 00000000BF3C: D3B14006 1802AD06
	v_pk_mul_f32 v[4:5], v[4:5], s[60:61]                      // 00000000BF44: D3B14004 18007904
	v_pk_mul_f32 v[6:7], v[6:7], s[60:61]                      // 00000000BF4C: D3B14006 18007906
	v_exp_f32_e32 v4, v4                                       // 00000000BF54: 7E084104
	v_exp_f32_e32 v5, v5                                       // 00000000BF58: 7E0A4105
	v_exp_f32_e32 v6, v6                                       // 00000000BF5C: 7E0C4106
	v_exp_f32_e32 v7, v7                                       // 00000000BF60: 7E0E4107
	v_add_f32_e64 v4, v4, 1.0                                  // 00000000BF64: D1010004 0001E504
	v_add_f32_e64 v5, v5, 1.0                                  // 00000000BF6C: D1010005 0001E505
	v_add_f32_e64 v6, v6, 1.0                                  // 00000000BF74: D1010006 0001E506
	v_add_f32_e64 v7, v7, 1.0                                  // 00000000BF7C: D1010007 0001E507
	v_rcp_f32_e32 v4, v4                                       // 00000000BF84: 7E084504
	v_rcp_f32_e32 v5, v5                                       // 00000000BF88: 7E0A4505
	v_rcp_f32_e32 v6, v6                                       // 00000000BF8C: 7E0C4506
	v_rcp_f32_e32 v7, v7                                       // 00000000BF90: 7E0E4507
	v_mul_f32_e32 v84, v84, v4                                 // 00000000BF94: 0AA80954
	v_mul_f32_e32 v85, v85, v5                                 // 00000000BF98: 0AAA0B55
	v_mul_f32_e32 v86, v86, v6                                 // 00000000BF9C: 0AAC0D56
	v_mul_f32_e32 v87, v87, v7                                 // 00000000BFA0: 0AAE0F57
	v_mul_f32_e32 v84, v84, v148                               // 00000000BFA4: 0AA92954
	v_mul_f32_e32 v85, v85, v149                               // 00000000BFA8: 0AAB2B55
	v_mul_f32_e32 v86, v86, v150                               // 00000000BFAC: 0AAD2D56
	v_mul_f32_e32 v87, v87, v151                               // 00000000BFB0: 0AAF2F57
	v_pk_mul_f32 v[4:5], v[88:89], v[88:89]                    // 00000000BFB4: D3B14004 1802B158
	v_pk_mul_f32 v[6:7], v[90:91], v[90:91]                    // 00000000BFBC: D3B14006 1802B55A
	v_pk_fma_f32 v[4:5], v[4:5], s[78:79], v[8:9]              // 00000000BFC4: D3B04004 1C209D04
	v_pk_fma_f32 v[6:7], v[6:7], s[78:79], v[8:9]              // 00000000BFCC: D3B04006 1C209D06
	v_pk_mul_f32 v[4:5], v[4:5], v[88:89]                      // 00000000BFD4: D3B14004 1802B104
	v_pk_mul_f32 v[6:7], v[6:7], v[90:91]                      // 00000000BFDC: D3B14006 1802B506
	v_pk_mul_f32 v[4:5], v[4:5], s[60:61]                      // 00000000BFE4: D3B14004 18007904
	v_pk_mul_f32 v[6:7], v[6:7], s[60:61]                      // 00000000BFEC: D3B14006 18007906
	v_exp_f32_e32 v4, v4                                       // 00000000BFF4: 7E084104
	v_exp_f32_e32 v5, v5                                       // 00000000BFF8: 7E0A4105
	v_exp_f32_e32 v6, v6                                       // 00000000BFFC: 7E0C4106
	v_exp_f32_e32 v7, v7                                       // 00000000C000: 7E0E4107
	v_add_f32_e64 v4, v4, 1.0                                  // 00000000C004: D1010004 0001E504
	v_add_f32_e64 v5, v5, 1.0                                  // 00000000C00C: D1010005 0001E505
	v_add_f32_e64 v6, v6, 1.0                                  // 00000000C014: D1010006 0001E506
	v_add_f32_e64 v7, v7, 1.0                                  // 00000000C01C: D1010007 0001E507
	v_rcp_f32_e32 v4, v4                                       // 00000000C024: 7E084504
	v_rcp_f32_e32 v5, v5                                       // 00000000C028: 7E0A4505
	v_rcp_f32_e32 v6, v6                                       // 00000000C02C: 7E0C4506
	v_rcp_f32_e32 v7, v7                                       // 00000000C030: 7E0E4507
	v_mul_f32_e32 v88, v88, v4                                 // 00000000C034: 0AB00958
	v_mul_f32_e32 v89, v89, v5                                 // 00000000C038: 0AB20B59
	v_mul_f32_e32 v90, v90, v6                                 // 00000000C03C: 0AB40D5A
	v_mul_f32_e32 v91, v91, v7                                 // 00000000C040: 0AB60F5B
	v_mul_f32_e32 v88, v88, v152                               // 00000000C044: 0AB13158
	v_mul_f32_e32 v89, v89, v153                               // 00000000C048: 0AB33359
	v_mul_f32_e32 v90, v90, v154                               // 00000000C04C: 0AB5355A
	v_mul_f32_e32 v91, v91, v155                               // 00000000C050: 0AB7375B
	v_pk_mul_f32 v[4:5], v[92:93], v[92:93]                    // 00000000C054: D3B14004 1802B95C
	v_pk_mul_f32 v[6:7], v[94:95], v[94:95]                    // 00000000C05C: D3B14006 1802BD5E
	v_pk_fma_f32 v[4:5], v[4:5], s[78:79], v[8:9]              // 00000000C064: D3B04004 1C209D04
	v_pk_fma_f32 v[6:7], v[6:7], s[78:79], v[8:9]              // 00000000C06C: D3B04006 1C209D06
	v_pk_mul_f32 v[4:5], v[4:5], v[92:93]                      // 00000000C074: D3B14004 1802B904
	v_pk_mul_f32 v[6:7], v[6:7], v[94:95]                      // 00000000C07C: D3B14006 1802BD06
	v_pk_mul_f32 v[4:5], v[4:5], s[60:61]                      // 00000000C084: D3B14004 18007904
	v_pk_mul_f32 v[6:7], v[6:7], s[60:61]                      // 00000000C08C: D3B14006 18007906
	v_exp_f32_e32 v4, v4                                       // 00000000C094: 7E084104
	v_exp_f32_e32 v5, v5                                       // 00000000C098: 7E0A4105
	v_exp_f32_e32 v6, v6                                       // 00000000C09C: 7E0C4106
	v_exp_f32_e32 v7, v7                                       // 00000000C0A0: 7E0E4107
	v_add_f32_e64 v4, v4, 1.0                                  // 00000000C0A4: D1010004 0001E504
	v_add_f32_e64 v5, v5, 1.0                                  // 00000000C0AC: D1010005 0001E505
	v_add_f32_e64 v6, v6, 1.0                                  // 00000000C0B4: D1010006 0001E506
	v_add_f32_e64 v7, v7, 1.0                                  // 00000000C0BC: D1010007 0001E507
	v_rcp_f32_e32 v4, v4                                       // 00000000C0C4: 7E084504
	v_rcp_f32_e32 v5, v5                                       // 00000000C0C8: 7E0A4505
	v_rcp_f32_e32 v6, v6                                       // 00000000C0CC: 7E0C4506
	v_rcp_f32_e32 v7, v7                                       // 00000000C0D0: 7E0E4507
	v_mul_f32_e32 v92, v92, v4                                 // 00000000C0D4: 0AB8095C
	v_mul_f32_e32 v93, v93, v5                                 // 00000000C0D8: 0ABA0B5D
	v_mul_f32_e32 v94, v94, v6                                 // 00000000C0DC: 0ABC0D5E
	v_mul_f32_e32 v95, v95, v7                                 // 00000000C0E0: 0ABE0F5F
	v_mul_f32_e32 v92, v92, v156                               // 00000000C0E4: 0AB9395C
	v_mul_f32_e32 v93, v93, v157                               // 00000000C0E8: 0ABB3B5D
	v_mul_f32_e32 v94, v94, v158                               // 00000000C0EC: 0ABD3D5E
	v_mul_f32_e32 v95, v95, v159                               // 00000000C0F0: 0ABF3F5F
	v_pk_mul_f32 v[4:5], v[96:97], v[96:97]                    // 00000000C0F4: D3B14004 1802C160
	v_pk_mul_f32 v[6:7], v[98:99], v[98:99]                    // 00000000C0FC: D3B14006 1802C562
	v_pk_fma_f32 v[4:5], v[4:5], s[78:79], v[8:9]              // 00000000C104: D3B04004 1C209D04
	v_pk_fma_f32 v[6:7], v[6:7], s[78:79], v[8:9]              // 00000000C10C: D3B04006 1C209D06
	v_pk_mul_f32 v[4:5], v[4:5], v[96:97]                      // 00000000C114: D3B14004 1802C104
	v_pk_mul_f32 v[6:7], v[6:7], v[98:99]                      // 00000000C11C: D3B14006 1802C506
	v_pk_mul_f32 v[4:5], v[4:5], s[60:61]                      // 00000000C124: D3B14004 18007904
	v_pk_mul_f32 v[6:7], v[6:7], s[60:61]                      // 00000000C12C: D3B14006 18007906
	v_exp_f32_e32 v4, v4                                       // 00000000C134: 7E084104
	v_exp_f32_e32 v5, v5                                       // 00000000C138: 7E0A4105
	v_exp_f32_e32 v6, v6                                       // 00000000C13C: 7E0C4106
	v_exp_f32_e32 v7, v7                                       // 00000000C140: 7E0E4107
	v_add_f32_e64 v4, v4, 1.0                                  // 00000000C144: D1010004 0001E504
	v_add_f32_e64 v5, v5, 1.0                                  // 00000000C14C: D1010005 0001E505
	v_add_f32_e64 v6, v6, 1.0                                  // 00000000C154: D1010006 0001E506
	v_add_f32_e64 v7, v7, 1.0                                  // 00000000C15C: D1010007 0001E507
	v_rcp_f32_e32 v4, v4                                       // 00000000C164: 7E084504
	v_rcp_f32_e32 v5, v5                                       // 00000000C168: 7E0A4505
	v_rcp_f32_e32 v6, v6                                       // 00000000C16C: 7E0C4506
	v_rcp_f32_e32 v7, v7                                       // 00000000C170: 7E0E4507
	v_mul_f32_e32 v96, v96, v4                                 // 00000000C174: 0AC00960
	v_mul_f32_e32 v97, v97, v5                                 // 00000000C178: 0AC20B61
	v_mul_f32_e32 v98, v98, v6                                 // 00000000C17C: 0AC40D62
	v_mul_f32_e32 v99, v99, v7                                 // 00000000C180: 0AC60F63
	v_mul_f32_e32 v96, v96, v160                               // 00000000C184: 0AC14160
	v_mul_f32_e32 v97, v97, v161                               // 00000000C188: 0AC34361
	v_mul_f32_e32 v98, v98, v162                               // 00000000C18C: 0AC54562
	v_mul_f32_e32 v99, v99, v163                               // 00000000C190: 0AC74763
	v_pk_mul_f32 v[4:5], v[100:101], v[100:101]                // 00000000C194: D3B14004 1802C964
	v_pk_mul_f32 v[6:7], v[102:103], v[102:103]                // 00000000C19C: D3B14006 1802CD66
	v_pk_fma_f32 v[4:5], v[4:5], s[78:79], v[8:9]              // 00000000C1A4: D3B04004 1C209D04
	v_pk_fma_f32 v[6:7], v[6:7], s[78:79], v[8:9]              // 00000000C1AC: D3B04006 1C209D06
	v_pk_mul_f32 v[4:5], v[4:5], v[100:101]                    // 00000000C1B4: D3B14004 1802C904
	v_pk_mul_f32 v[6:7], v[6:7], v[102:103]                    // 00000000C1BC: D3B14006 1802CD06
	v_pk_mul_f32 v[4:5], v[4:5], s[60:61]                      // 00000000C1C4: D3B14004 18007904
	v_pk_mul_f32 v[6:7], v[6:7], s[60:61]                      // 00000000C1CC: D3B14006 18007906
	v_exp_f32_e32 v4, v4                                       // 00000000C1D4: 7E084104
	v_exp_f32_e32 v5, v5                                       // 00000000C1D8: 7E0A4105
	v_exp_f32_e32 v6, v6                                       // 00000000C1DC: 7E0C4106
	v_exp_f32_e32 v7, v7                                       // 00000000C1E0: 7E0E4107
	v_add_f32_e64 v4, v4, 1.0                                  // 00000000C1E4: D1010004 0001E504
	v_add_f32_e64 v5, v5, 1.0                                  // 00000000C1EC: D1010005 0001E505
	v_add_f32_e64 v6, v6, 1.0                                  // 00000000C1F4: D1010006 0001E506
	v_add_f32_e64 v7, v7, 1.0                                  // 00000000C1FC: D1010007 0001E507
	v_rcp_f32_e32 v4, v4                                       // 00000000C204: 7E084504
	v_rcp_f32_e32 v5, v5                                       // 00000000C208: 7E0A4505
	v_rcp_f32_e32 v6, v6                                       // 00000000C20C: 7E0C4506
	v_rcp_f32_e32 v7, v7                                       // 00000000C210: 7E0E4507
	v_mul_f32_e32 v100, v100, v4                               // 00000000C214: 0AC80964
	v_mul_f32_e32 v101, v101, v5                               // 00000000C218: 0ACA0B65
	v_mul_f32_e32 v102, v102, v6                               // 00000000C21C: 0ACC0D66
	v_mul_f32_e32 v103, v103, v7                               // 00000000C220: 0ACE0F67
	v_mul_f32_e32 v100, v100, v164                             // 00000000C224: 0AC94964
	v_mul_f32_e32 v101, v101, v165                             // 00000000C228: 0ACB4B65
	v_mul_f32_e32 v102, v102, v166                             // 00000000C22C: 0ACD4D66
	v_mul_f32_e32 v103, v103, v167                             // 00000000C230: 0ACF4F67
	v_pk_mul_f32 v[4:5], v[104:105], v[104:105]                // 00000000C234: D3B14004 1802D168
	v_pk_mul_f32 v[6:7], v[106:107], v[106:107]                // 00000000C23C: D3B14006 1802D56A
	v_pk_fma_f32 v[4:5], v[4:5], s[78:79], v[8:9]              // 00000000C244: D3B04004 1C209D04
	v_pk_fma_f32 v[6:7], v[6:7], s[78:79], v[8:9]              // 00000000C24C: D3B04006 1C209D06
	v_pk_mul_f32 v[4:5], v[4:5], v[104:105]                    // 00000000C254: D3B14004 1802D104
	v_pk_mul_f32 v[6:7], v[6:7], v[106:107]                    // 00000000C25C: D3B14006 1802D506
	v_pk_mul_f32 v[4:5], v[4:5], s[60:61]                      // 00000000C264: D3B14004 18007904
	v_pk_mul_f32 v[6:7], v[6:7], s[60:61]                      // 00000000C26C: D3B14006 18007906
	v_exp_f32_e32 v4, v4                                       // 00000000C274: 7E084104
	v_exp_f32_e32 v5, v5                                       // 00000000C278: 7E0A4105
	v_exp_f32_e32 v6, v6                                       // 00000000C27C: 7E0C4106
	v_exp_f32_e32 v7, v7                                       // 00000000C280: 7E0E4107
	v_add_f32_e64 v4, v4, 1.0                                  // 00000000C284: D1010004 0001E504
	v_add_f32_e64 v5, v5, 1.0                                  // 00000000C28C: D1010005 0001E505
	v_add_f32_e64 v6, v6, 1.0                                  // 00000000C294: D1010006 0001E506
	v_add_f32_e64 v7, v7, 1.0                                  // 00000000C29C: D1010007 0001E507
	v_rcp_f32_e32 v4, v4                                       // 00000000C2A4: 7E084504
	v_rcp_f32_e32 v5, v5                                       // 00000000C2A8: 7E0A4505
	v_rcp_f32_e32 v6, v6                                       // 00000000C2AC: 7E0C4506
	v_rcp_f32_e32 v7, v7                                       // 00000000C2B0: 7E0E4507
	v_mul_f32_e32 v104, v104, v4                               // 00000000C2B4: 0AD00968
	v_mul_f32_e32 v105, v105, v5                               // 00000000C2B8: 0AD20B69
	v_mul_f32_e32 v106, v106, v6                               // 00000000C2BC: 0AD40D6A
	v_mul_f32_e32 v107, v107, v7                               // 00000000C2C0: 0AD60F6B
	v_mul_f32_e32 v104, v104, v168                             // 00000000C2C4: 0AD15168
	v_mul_f32_e32 v105, v105, v169                             // 00000000C2C8: 0AD35369
	v_mul_f32_e32 v106, v106, v170                             // 00000000C2CC: 0AD5556A
	v_mul_f32_e32 v107, v107, v171                             // 00000000C2D0: 0AD7576B
	v_pk_mul_f32 v[4:5], v[108:109], v[108:109]                // 00000000C2D4: D3B14004 1802D96C
	v_pk_mul_f32 v[6:7], v[110:111], v[110:111]                // 00000000C2DC: D3B14006 1802DD6E
	v_pk_fma_f32 v[4:5], v[4:5], s[78:79], v[8:9]              // 00000000C2E4: D3B04004 1C209D04
	v_pk_fma_f32 v[6:7], v[6:7], s[78:79], v[8:9]              // 00000000C2EC: D3B04006 1C209D06
	v_pk_mul_f32 v[4:5], v[4:5], v[108:109]                    // 00000000C2F4: D3B14004 1802D904
	v_pk_mul_f32 v[6:7], v[6:7], v[110:111]                    // 00000000C2FC: D3B14006 1802DD06
	v_pk_mul_f32 v[4:5], v[4:5], s[60:61]                      // 00000000C304: D3B14004 18007904
	v_pk_mul_f32 v[6:7], v[6:7], s[60:61]                      // 00000000C30C: D3B14006 18007906
	v_exp_f32_e32 v4, v4                                       // 00000000C314: 7E084104
	v_exp_f32_e32 v5, v5                                       // 00000000C318: 7E0A4105
	v_exp_f32_e32 v6, v6                                       // 00000000C31C: 7E0C4106
	v_exp_f32_e32 v7, v7                                       // 00000000C320: 7E0E4107
	v_add_f32_e64 v4, v4, 1.0                                  // 00000000C324: D1010004 0001E504
	v_add_f32_e64 v5, v5, 1.0                                  // 00000000C32C: D1010005 0001E505
	v_add_f32_e64 v6, v6, 1.0                                  // 00000000C334: D1010006 0001E506
	v_add_f32_e64 v7, v7, 1.0                                  // 00000000C33C: D1010007 0001E507
	v_rcp_f32_e32 v4, v4                                       // 00000000C344: 7E084504
	v_rcp_f32_e32 v5, v5                                       // 00000000C348: 7E0A4505
	v_rcp_f32_e32 v6, v6                                       // 00000000C34C: 7E0C4506
	v_rcp_f32_e32 v7, v7                                       // 00000000C350: 7E0E4507
	v_mul_f32_e32 v108, v108, v4                               // 00000000C354: 0AD8096C
	v_mul_f32_e32 v109, v109, v5                               // 00000000C358: 0ADA0B6D
	v_mul_f32_e32 v110, v110, v6                               // 00000000C35C: 0ADC0D6E
	v_mul_f32_e32 v111, v111, v7                               // 00000000C360: 0ADE0F6F
	v_mul_f32_e32 v108, v108, v172                             // 00000000C364: 0AD9596C
	v_mul_f32_e32 v109, v109, v173                             // 00000000C368: 0ADB5B6D
	v_mul_f32_e32 v110, v110, v174                             // 00000000C36C: 0ADD5D6E
	v_mul_f32_e32 v111, v111, v175                             // 00000000C370: 0ADF5F6F
	v_pk_mul_f32 v[4:5], v[112:113], v[112:113]                // 00000000C374: D3B14004 1802E170
	v_pk_mul_f32 v[6:7], v[114:115], v[114:115]                // 00000000C37C: D3B14006 1802E572
	v_pk_fma_f32 v[4:5], v[4:5], s[78:79], v[8:9]              // 00000000C384: D3B04004 1C209D04
	v_pk_fma_f32 v[6:7], v[6:7], s[78:79], v[8:9]              // 00000000C38C: D3B04006 1C209D06
	v_pk_mul_f32 v[4:5], v[4:5], v[112:113]                    // 00000000C394: D3B14004 1802E104
	v_pk_mul_f32 v[6:7], v[6:7], v[114:115]                    // 00000000C39C: D3B14006 1802E506
	v_pk_mul_f32 v[4:5], v[4:5], s[60:61]                      // 00000000C3A4: D3B14004 18007904
	v_pk_mul_f32 v[6:7], v[6:7], s[60:61]                      // 00000000C3AC: D3B14006 18007906
	v_exp_f32_e32 v4, v4                                       // 00000000C3B4: 7E084104
	v_exp_f32_e32 v5, v5                                       // 00000000C3B8: 7E0A4105
	v_exp_f32_e32 v6, v6                                       // 00000000C3BC: 7E0C4106
	v_exp_f32_e32 v7, v7                                       // 00000000C3C0: 7E0E4107
	v_add_f32_e64 v4, v4, 1.0                                  // 00000000C3C4: D1010004 0001E504
	v_add_f32_e64 v5, v5, 1.0                                  // 00000000C3CC: D1010005 0001E505
	v_add_f32_e64 v6, v6, 1.0                                  // 00000000C3D4: D1010006 0001E506
	v_add_f32_e64 v7, v7, 1.0                                  // 00000000C3DC: D1010007 0001E507
	v_rcp_f32_e32 v4, v4                                       // 00000000C3E4: 7E084504
	v_rcp_f32_e32 v5, v5                                       // 00000000C3E8: 7E0A4505
	v_rcp_f32_e32 v6, v6                                       // 00000000C3EC: 7E0C4506
	v_rcp_f32_e32 v7, v7                                       // 00000000C3F0: 7E0E4507
	v_mul_f32_e32 v112, v112, v4                               // 00000000C3F4: 0AE00970
	v_mul_f32_e32 v113, v113, v5                               // 00000000C3F8: 0AE20B71
	v_mul_f32_e32 v114, v114, v6                               // 00000000C3FC: 0AE40D72
	v_mul_f32_e32 v115, v115, v7                               // 00000000C400: 0AE60F73
	v_mul_f32_e32 v112, v112, v176                             // 00000000C404: 0AE16170
	v_mul_f32_e32 v113, v113, v177                             // 00000000C408: 0AE36371
	v_mul_f32_e32 v114, v114, v178                             // 00000000C40C: 0AE56572
	v_mul_f32_e32 v115, v115, v179                             // 00000000C410: 0AE76773
	v_pk_mul_f32 v[4:5], v[116:117], v[116:117]                // 00000000C414: D3B14004 1802E974
	v_pk_mul_f32 v[6:7], v[118:119], v[118:119]                // 00000000C41C: D3B14006 1802ED76
	v_pk_fma_f32 v[4:5], v[4:5], s[78:79], v[8:9]              // 00000000C424: D3B04004 1C209D04
	v_pk_fma_f32 v[6:7], v[6:7], s[78:79], v[8:9]              // 00000000C42C: D3B04006 1C209D06
	v_pk_mul_f32 v[4:5], v[4:5], v[116:117]                    // 00000000C434: D3B14004 1802E904
	v_pk_mul_f32 v[6:7], v[6:7], v[118:119]                    // 00000000C43C: D3B14006 1802ED06
	v_pk_mul_f32 v[4:5], v[4:5], s[60:61]                      // 00000000C444: D3B14004 18007904
	v_pk_mul_f32 v[6:7], v[6:7], s[60:61]                      // 00000000C44C: D3B14006 18007906
	v_exp_f32_e32 v4, v4                                       // 00000000C454: 7E084104
	v_exp_f32_e32 v5, v5                                       // 00000000C458: 7E0A4105
	v_exp_f32_e32 v6, v6                                       // 00000000C45C: 7E0C4106
	v_exp_f32_e32 v7, v7                                       // 00000000C460: 7E0E4107
	v_add_f32_e64 v4, v4, 1.0                                  // 00000000C464: D1010004 0001E504
	v_add_f32_e64 v5, v5, 1.0                                  // 00000000C46C: D1010005 0001E505
	v_add_f32_e64 v6, v6, 1.0                                  // 00000000C474: D1010006 0001E506
	v_add_f32_e64 v7, v7, 1.0                                  // 00000000C47C: D1010007 0001E507
	v_rcp_f32_e32 v4, v4                                       // 00000000C484: 7E084504
	v_rcp_f32_e32 v5, v5                                       // 00000000C488: 7E0A4505
	v_rcp_f32_e32 v6, v6                                       // 00000000C48C: 7E0C4506
	v_rcp_f32_e32 v7, v7                                       // 00000000C490: 7E0E4507
	v_mul_f32_e32 v116, v116, v4                               // 00000000C494: 0AE80974
	v_mul_f32_e32 v117, v117, v5                               // 00000000C498: 0AEA0B75
	v_mul_f32_e32 v118, v118, v6                               // 00000000C49C: 0AEC0D76
	v_mul_f32_e32 v119, v119, v7                               // 00000000C4A0: 0AEE0F77
	v_mul_f32_e32 v116, v116, v180                             // 00000000C4A4: 0AE96974
	v_mul_f32_e32 v117, v117, v181                             // 00000000C4A8: 0AEB6B75
	v_mul_f32_e32 v118, v118, v182                             // 00000000C4AC: 0AED6D76
	v_mul_f32_e32 v119, v119, v183                             // 00000000C4B0: 0AEF6F77
	v_pk_mul_f32 v[4:5], v[120:121], v[120:121]                // 00000000C4B4: D3B14004 1802F178
	v_pk_mul_f32 v[6:7], v[122:123], v[122:123]                // 00000000C4BC: D3B14006 1802F57A
	v_pk_fma_f32 v[4:5], v[4:5], s[78:79], v[8:9]              // 00000000C4C4: D3B04004 1C209D04
	v_pk_fma_f32 v[6:7], v[6:7], s[78:79], v[8:9]              // 00000000C4CC: D3B04006 1C209D06
	v_pk_mul_f32 v[4:5], v[4:5], v[120:121]                    // 00000000C4D4: D3B14004 1802F104
	v_pk_mul_f32 v[6:7], v[6:7], v[122:123]                    // 00000000C4DC: D3B14006 1802F506
	v_pk_mul_f32 v[4:5], v[4:5], s[60:61]                      // 00000000C4E4: D3B14004 18007904
	v_pk_mul_f32 v[6:7], v[6:7], s[60:61]                      // 00000000C4EC: D3B14006 18007906
	v_exp_f32_e32 v4, v4                                       // 00000000C4F4: 7E084104
	v_exp_f32_e32 v5, v5                                       // 00000000C4F8: 7E0A4105
	v_exp_f32_e32 v6, v6                                       // 00000000C4FC: 7E0C4106
	v_exp_f32_e32 v7, v7                                       // 00000000C500: 7E0E4107
	v_add_f32_e64 v4, v4, 1.0                                  // 00000000C504: D1010004 0001E504
	v_add_f32_e64 v5, v5, 1.0                                  // 00000000C50C: D1010005 0001E505
	v_add_f32_e64 v6, v6, 1.0                                  // 00000000C514: D1010006 0001E506
	v_add_f32_e64 v7, v7, 1.0                                  // 00000000C51C: D1010007 0001E507
	v_rcp_f32_e32 v4, v4                                       // 00000000C524: 7E084504
	v_rcp_f32_e32 v5, v5                                       // 00000000C528: 7E0A4505
	v_rcp_f32_e32 v6, v6                                       // 00000000C52C: 7E0C4506
	v_rcp_f32_e32 v7, v7                                       // 00000000C530: 7E0E4507
	v_mul_f32_e32 v120, v120, v4                               // 00000000C534: 0AF00978
	v_mul_f32_e32 v121, v121, v5                               // 00000000C538: 0AF20B79
	v_mul_f32_e32 v122, v122, v6                               // 00000000C53C: 0AF40D7A
	v_mul_f32_e32 v123, v123, v7                               // 00000000C540: 0AF60F7B
	v_mul_f32_e32 v120, v120, v184                             // 00000000C544: 0AF17178
	v_mul_f32_e32 v121, v121, v185                             // 00000000C548: 0AF37379
	v_mul_f32_e32 v122, v122, v186                             // 00000000C54C: 0AF5757A
	v_mul_f32_e32 v123, v123, v187                             // 00000000C550: 0AF7777B
	s_branch label_28D9                                        // 00000000C554: BF820200

000000000000c558 <label_26D9>:
	v_mul_f32_e64 v4, -v60, s6                                 // 00000000C558: D1050004 20000D3C
	v_mul_f32_e64 v5, -v61, s6                                 // 00000000C560: D1050005 20000D3D
	v_mul_f32_e64 v6, -v62, s6                                 // 00000000C568: D1050006 20000D3E
	v_mul_f32_e64 v7, -v63, s6                                 // 00000000C570: D1050007 20000D3F
	v_exp_f32_e32 v4, v4                                       // 00000000C578: 7E084104
	v_exp_f32_e32 v5, v5                                       // 00000000C57C: 7E0A4105
	v_exp_f32_e32 v6, v6                                       // 00000000C580: 7E0C4106
	v_exp_f32_e32 v7, v7                                       // 00000000C584: 7E0E4107
	v_add_f32_e64 v4, v4, 1.0                                  // 00000000C588: D1010004 0001E504
	v_add_f32_e64 v5, v5, 1.0                                  // 00000000C590: D1010005 0001E505
	v_add_f32_e64 v6, v6, 1.0                                  // 00000000C598: D1010006 0001E506
	v_add_f32_e64 v7, v7, 1.0                                  // 00000000C5A0: D1010007 0001E507
	v_rcp_f32_e32 v4, v4                                       // 00000000C5A8: 7E084504
	v_rcp_f32_e32 v5, v5                                       // 00000000C5AC: 7E0A4505
	v_rcp_f32_e32 v6, v6                                       // 00000000C5B0: 7E0C4506
	v_rcp_f32_e32 v7, v7                                       // 00000000C5B4: 7E0E4507
	v_mul_f32_e32 v60, v60, v4                                 // 00000000C5B8: 0A78093C
	v_mul_f32_e32 v61, v61, v5                                 // 00000000C5BC: 0A7A0B3D
	v_mul_f32_e32 v62, v62, v6                                 // 00000000C5C0: 0A7C0D3E
	v_mul_f32_e32 v63, v63, v7                                 // 00000000C5C4: 0A7E0F3F
	v_mul_f32_e32 v60, v60, v124                               // 00000000C5C8: 0A78F93C
	v_mul_f32_e32 v61, v61, v125                               // 00000000C5CC: 0A7AFB3D
	v_mul_f32_e32 v62, v62, v126                               // 00000000C5D0: 0A7CFD3E
	v_mul_f32_e32 v63, v63, v127                               // 00000000C5D4: 0A7EFF3F
	v_mul_f32_e64 v4, -v64, s6                                 // 00000000C5D8: D1050004 20000D40
	v_mul_f32_e64 v5, -v65, s6                                 // 00000000C5E0: D1050005 20000D41
	v_mul_f32_e64 v6, -v66, s6                                 // 00000000C5E8: D1050006 20000D42
	v_mul_f32_e64 v7, -v67, s6                                 // 00000000C5F0: D1050007 20000D43
	v_exp_f32_e32 v4, v4                                       // 00000000C5F8: 7E084104
	v_exp_f32_e32 v5, v5                                       // 00000000C5FC: 7E0A4105
	v_exp_f32_e32 v6, v6                                       // 00000000C600: 7E0C4106
	v_exp_f32_e32 v7, v7                                       // 00000000C604: 7E0E4107
	v_add_f32_e64 v4, v4, 1.0                                  // 00000000C608: D1010004 0001E504
	v_add_f32_e64 v5, v5, 1.0                                  // 00000000C610: D1010005 0001E505
	v_add_f32_e64 v6, v6, 1.0                                  // 00000000C618: D1010006 0001E506
	v_add_f32_e64 v7, v7, 1.0                                  // 00000000C620: D1010007 0001E507
	v_rcp_f32_e32 v4, v4                                       // 00000000C628: 7E084504
	v_rcp_f32_e32 v5, v5                                       // 00000000C62C: 7E0A4505
	v_rcp_f32_e32 v6, v6                                       // 00000000C630: 7E0C4506
	v_rcp_f32_e32 v7, v7                                       // 00000000C634: 7E0E4507
	v_mul_f32_e32 v64, v64, v4                                 // 00000000C638: 0A800940
	v_mul_f32_e32 v65, v65, v5                                 // 00000000C63C: 0A820B41
	v_mul_f32_e32 v66, v66, v6                                 // 00000000C640: 0A840D42
	v_mul_f32_e32 v67, v67, v7                                 // 00000000C644: 0A860F43
	v_mul_f32_e32 v64, v64, v128                               // 00000000C648: 0A810140
	v_mul_f32_e32 v65, v65, v129                               // 00000000C64C: 0A830341
	v_mul_f32_e32 v66, v66, v130                               // 00000000C650: 0A850542
	v_mul_f32_e32 v67, v67, v131                               // 00000000C654: 0A870743
	v_mul_f32_e64 v4, -v68, s6                                 // 00000000C658: D1050004 20000D44
	v_mul_f32_e64 v5, -v69, s6                                 // 00000000C660: D1050005 20000D45
	v_mul_f32_e64 v6, -v70, s6                                 // 00000000C668: D1050006 20000D46
	v_mul_f32_e64 v7, -v71, s6                                 // 00000000C670: D1050007 20000D47
	v_exp_f32_e32 v4, v4                                       // 00000000C678: 7E084104
	v_exp_f32_e32 v5, v5                                       // 00000000C67C: 7E0A4105
	v_exp_f32_e32 v6, v6                                       // 00000000C680: 7E0C4106
	v_exp_f32_e32 v7, v7                                       // 00000000C684: 7E0E4107
	v_add_f32_e64 v4, v4, 1.0                                  // 00000000C688: D1010004 0001E504
	v_add_f32_e64 v5, v5, 1.0                                  // 00000000C690: D1010005 0001E505
	v_add_f32_e64 v6, v6, 1.0                                  // 00000000C698: D1010006 0001E506
	v_add_f32_e64 v7, v7, 1.0                                  // 00000000C6A0: D1010007 0001E507
	v_rcp_f32_e32 v4, v4                                       // 00000000C6A8: 7E084504
	v_rcp_f32_e32 v5, v5                                       // 00000000C6AC: 7E0A4505
	v_rcp_f32_e32 v6, v6                                       // 00000000C6B0: 7E0C4506
	v_rcp_f32_e32 v7, v7                                       // 00000000C6B4: 7E0E4507
	v_mul_f32_e32 v68, v68, v4                                 // 00000000C6B8: 0A880944
	v_mul_f32_e32 v69, v69, v5                                 // 00000000C6BC: 0A8A0B45
	v_mul_f32_e32 v70, v70, v6                                 // 00000000C6C0: 0A8C0D46
	v_mul_f32_e32 v71, v71, v7                                 // 00000000C6C4: 0A8E0F47
	v_mul_f32_e32 v68, v68, v132                               // 00000000C6C8: 0A890944
	v_mul_f32_e32 v69, v69, v133                               // 00000000C6CC: 0A8B0B45
	v_mul_f32_e32 v70, v70, v134                               // 00000000C6D0: 0A8D0D46
	v_mul_f32_e32 v71, v71, v135                               // 00000000C6D4: 0A8F0F47
	v_mul_f32_e64 v4, -v72, s6                                 // 00000000C6D8: D1050004 20000D48
	v_mul_f32_e64 v5, -v73, s6                                 // 00000000C6E0: D1050005 20000D49
	v_mul_f32_e64 v6, -v74, s6                                 // 00000000C6E8: D1050006 20000D4A
	v_mul_f32_e64 v7, -v75, s6                                 // 00000000C6F0: D1050007 20000D4B
	v_exp_f32_e32 v4, v4                                       // 00000000C6F8: 7E084104
	v_exp_f32_e32 v5, v5                                       // 00000000C6FC: 7E0A4105
	v_exp_f32_e32 v6, v6                                       // 00000000C700: 7E0C4106
	v_exp_f32_e32 v7, v7                                       // 00000000C704: 7E0E4107
	v_add_f32_e64 v4, v4, 1.0                                  // 00000000C708: D1010004 0001E504
	v_add_f32_e64 v5, v5, 1.0                                  // 00000000C710: D1010005 0001E505
	v_add_f32_e64 v6, v6, 1.0                                  // 00000000C718: D1010006 0001E506
	v_add_f32_e64 v7, v7, 1.0                                  // 00000000C720: D1010007 0001E507
	v_rcp_f32_e32 v4, v4                                       // 00000000C728: 7E084504
	v_rcp_f32_e32 v5, v5                                       // 00000000C72C: 7E0A4505
	v_rcp_f32_e32 v6, v6                                       // 00000000C730: 7E0C4506
	v_rcp_f32_e32 v7, v7                                       // 00000000C734: 7E0E4507
	v_mul_f32_e32 v72, v72, v4                                 // 00000000C738: 0A900948
	v_mul_f32_e32 v73, v73, v5                                 // 00000000C73C: 0A920B49
	v_mul_f32_e32 v74, v74, v6                                 // 00000000C740: 0A940D4A
	v_mul_f32_e32 v75, v75, v7                                 // 00000000C744: 0A960F4B
	v_mul_f32_e32 v72, v72, v136                               // 00000000C748: 0A911148
	v_mul_f32_e32 v73, v73, v137                               // 00000000C74C: 0A931349
	v_mul_f32_e32 v74, v74, v138                               // 00000000C750: 0A95154A
	v_mul_f32_e32 v75, v75, v139                               // 00000000C754: 0A97174B
	v_mul_f32_e64 v4, -v76, s6                                 // 00000000C758: D1050004 20000D4C
	v_mul_f32_e64 v5, -v77, s6                                 // 00000000C760: D1050005 20000D4D
	v_mul_f32_e64 v6, -v78, s6                                 // 00000000C768: D1050006 20000D4E
	v_mul_f32_e64 v7, -v79, s6                                 // 00000000C770: D1050007 20000D4F
	v_exp_f32_e32 v4, v4                                       // 00000000C778: 7E084104
	v_exp_f32_e32 v5, v5                                       // 00000000C77C: 7E0A4105
	v_exp_f32_e32 v6, v6                                       // 00000000C780: 7E0C4106
	v_exp_f32_e32 v7, v7                                       // 00000000C784: 7E0E4107
	v_add_f32_e64 v4, v4, 1.0                                  // 00000000C788: D1010004 0001E504
	v_add_f32_e64 v5, v5, 1.0                                  // 00000000C790: D1010005 0001E505
	v_add_f32_e64 v6, v6, 1.0                                  // 00000000C798: D1010006 0001E506
	v_add_f32_e64 v7, v7, 1.0                                  // 00000000C7A0: D1010007 0001E507
	v_rcp_f32_e32 v4, v4                                       // 00000000C7A8: 7E084504
	v_rcp_f32_e32 v5, v5                                       // 00000000C7AC: 7E0A4505
	v_rcp_f32_e32 v6, v6                                       // 00000000C7B0: 7E0C4506
	v_rcp_f32_e32 v7, v7                                       // 00000000C7B4: 7E0E4507
	v_mul_f32_e32 v76, v76, v4                                 // 00000000C7B8: 0A98094C
	v_mul_f32_e32 v77, v77, v5                                 // 00000000C7BC: 0A9A0B4D
	v_mul_f32_e32 v78, v78, v6                                 // 00000000C7C0: 0A9C0D4E
	v_mul_f32_e32 v79, v79, v7                                 // 00000000C7C4: 0A9E0F4F
	v_mul_f32_e32 v76, v76, v140                               // 00000000C7C8: 0A99194C
	v_mul_f32_e32 v77, v77, v141                               // 00000000C7CC: 0A9B1B4D
	v_mul_f32_e32 v78, v78, v142                               // 00000000C7D0: 0A9D1D4E
	v_mul_f32_e32 v79, v79, v143                               // 00000000C7D4: 0A9F1F4F
	v_mul_f32_e64 v4, -v80, s6                                 // 00000000C7D8: D1050004 20000D50
	v_mul_f32_e64 v5, -v81, s6                                 // 00000000C7E0: D1050005 20000D51
	v_mul_f32_e64 v6, -v82, s6                                 // 00000000C7E8: D1050006 20000D52
	v_mul_f32_e64 v7, -v83, s6                                 // 00000000C7F0: D1050007 20000D53
	v_exp_f32_e32 v4, v4                                       // 00000000C7F8: 7E084104
	v_exp_f32_e32 v5, v5                                       // 00000000C7FC: 7E0A4105
	v_exp_f32_e32 v6, v6                                       // 00000000C800: 7E0C4106
	v_exp_f32_e32 v7, v7                                       // 00000000C804: 7E0E4107
	v_add_f32_e64 v4, v4, 1.0                                  // 00000000C808: D1010004 0001E504
	v_add_f32_e64 v5, v5, 1.0                                  // 00000000C810: D1010005 0001E505
	v_add_f32_e64 v6, v6, 1.0                                  // 00000000C818: D1010006 0001E506
	v_add_f32_e64 v7, v7, 1.0                                  // 00000000C820: D1010007 0001E507
	v_rcp_f32_e32 v4, v4                                       // 00000000C828: 7E084504
	v_rcp_f32_e32 v5, v5                                       // 00000000C82C: 7E0A4505
	v_rcp_f32_e32 v6, v6                                       // 00000000C830: 7E0C4506
	v_rcp_f32_e32 v7, v7                                       // 00000000C834: 7E0E4507
	v_mul_f32_e32 v80, v80, v4                                 // 00000000C838: 0AA00950
	v_mul_f32_e32 v81, v81, v5                                 // 00000000C83C: 0AA20B51
	v_mul_f32_e32 v82, v82, v6                                 // 00000000C840: 0AA40D52
	v_mul_f32_e32 v83, v83, v7                                 // 00000000C844: 0AA60F53
	v_mul_f32_e32 v80, v80, v144                               // 00000000C848: 0AA12150
	v_mul_f32_e32 v81, v81, v145                               // 00000000C84C: 0AA32351
	v_mul_f32_e32 v82, v82, v146                               // 00000000C850: 0AA52552
	v_mul_f32_e32 v83, v83, v147                               // 00000000C854: 0AA72753
	v_mul_f32_e64 v4, -v84, s6                                 // 00000000C858: D1050004 20000D54
	v_mul_f32_e64 v5, -v85, s6                                 // 00000000C860: D1050005 20000D55
	v_mul_f32_e64 v6, -v86, s6                                 // 00000000C868: D1050006 20000D56
	v_mul_f32_e64 v7, -v87, s6                                 // 00000000C870: D1050007 20000D57
	v_exp_f32_e32 v4, v4                                       // 00000000C878: 7E084104
	v_exp_f32_e32 v5, v5                                       // 00000000C87C: 7E0A4105
	v_exp_f32_e32 v6, v6                                       // 00000000C880: 7E0C4106
	v_exp_f32_e32 v7, v7                                       // 00000000C884: 7E0E4107
	v_add_f32_e64 v4, v4, 1.0                                  // 00000000C888: D1010004 0001E504
	v_add_f32_e64 v5, v5, 1.0                                  // 00000000C890: D1010005 0001E505
	v_add_f32_e64 v6, v6, 1.0                                  // 00000000C898: D1010006 0001E506
	v_add_f32_e64 v7, v7, 1.0                                  // 00000000C8A0: D1010007 0001E507
	v_rcp_f32_e32 v4, v4                                       // 00000000C8A8: 7E084504
	v_rcp_f32_e32 v5, v5                                       // 00000000C8AC: 7E0A4505
	v_rcp_f32_e32 v6, v6                                       // 00000000C8B0: 7E0C4506
	v_rcp_f32_e32 v7, v7                                       // 00000000C8B4: 7E0E4507
	v_mul_f32_e32 v84, v84, v4                                 // 00000000C8B8: 0AA80954
	v_mul_f32_e32 v85, v85, v5                                 // 00000000C8BC: 0AAA0B55
	v_mul_f32_e32 v86, v86, v6                                 // 00000000C8C0: 0AAC0D56
	v_mul_f32_e32 v87, v87, v7                                 // 00000000C8C4: 0AAE0F57
	v_mul_f32_e32 v84, v84, v148                               // 00000000C8C8: 0AA92954
	v_mul_f32_e32 v85, v85, v149                               // 00000000C8CC: 0AAB2B55
	v_mul_f32_e32 v86, v86, v150                               // 00000000C8D0: 0AAD2D56
	v_mul_f32_e32 v87, v87, v151                               // 00000000C8D4: 0AAF2F57
	v_mul_f32_e64 v4, -v88, s6                                 // 00000000C8D8: D1050004 20000D58
	v_mul_f32_e64 v5, -v89, s6                                 // 00000000C8E0: D1050005 20000D59
	v_mul_f32_e64 v6, -v90, s6                                 // 00000000C8E8: D1050006 20000D5A
	v_mul_f32_e64 v7, -v91, s6                                 // 00000000C8F0: D1050007 20000D5B
	v_exp_f32_e32 v4, v4                                       // 00000000C8F8: 7E084104
	v_exp_f32_e32 v5, v5                                       // 00000000C8FC: 7E0A4105
	v_exp_f32_e32 v6, v6                                       // 00000000C900: 7E0C4106
	v_exp_f32_e32 v7, v7                                       // 00000000C904: 7E0E4107
	v_add_f32_e64 v4, v4, 1.0                                  // 00000000C908: D1010004 0001E504
	v_add_f32_e64 v5, v5, 1.0                                  // 00000000C910: D1010005 0001E505
	v_add_f32_e64 v6, v6, 1.0                                  // 00000000C918: D1010006 0001E506
	v_add_f32_e64 v7, v7, 1.0                                  // 00000000C920: D1010007 0001E507
	v_rcp_f32_e32 v4, v4                                       // 00000000C928: 7E084504
	v_rcp_f32_e32 v5, v5                                       // 00000000C92C: 7E0A4505
	v_rcp_f32_e32 v6, v6                                       // 00000000C930: 7E0C4506
	v_rcp_f32_e32 v7, v7                                       // 00000000C934: 7E0E4507
	v_mul_f32_e32 v88, v88, v4                                 // 00000000C938: 0AB00958
	v_mul_f32_e32 v89, v89, v5                                 // 00000000C93C: 0AB20B59
	v_mul_f32_e32 v90, v90, v6                                 // 00000000C940: 0AB40D5A
	v_mul_f32_e32 v91, v91, v7                                 // 00000000C944: 0AB60F5B
	v_mul_f32_e32 v88, v88, v152                               // 00000000C948: 0AB13158
	v_mul_f32_e32 v89, v89, v153                               // 00000000C94C: 0AB33359
	v_mul_f32_e32 v90, v90, v154                               // 00000000C950: 0AB5355A
	v_mul_f32_e32 v91, v91, v155                               // 00000000C954: 0AB7375B
	v_mul_f32_e64 v4, -v92, s6                                 // 00000000C958: D1050004 20000D5C
	v_mul_f32_e64 v5, -v93, s6                                 // 00000000C960: D1050005 20000D5D
	v_mul_f32_e64 v6, -v94, s6                                 // 00000000C968: D1050006 20000D5E
	v_mul_f32_e64 v7, -v95, s6                                 // 00000000C970: D1050007 20000D5F
	v_exp_f32_e32 v4, v4                                       // 00000000C978: 7E084104
	v_exp_f32_e32 v5, v5                                       // 00000000C97C: 7E0A4105
	v_exp_f32_e32 v6, v6                                       // 00000000C980: 7E0C4106
	v_exp_f32_e32 v7, v7                                       // 00000000C984: 7E0E4107
	v_add_f32_e64 v4, v4, 1.0                                  // 00000000C988: D1010004 0001E504
	v_add_f32_e64 v5, v5, 1.0                                  // 00000000C990: D1010005 0001E505
	v_add_f32_e64 v6, v6, 1.0                                  // 00000000C998: D1010006 0001E506
	v_add_f32_e64 v7, v7, 1.0                                  // 00000000C9A0: D1010007 0001E507
	v_rcp_f32_e32 v4, v4                                       // 00000000C9A8: 7E084504
	v_rcp_f32_e32 v5, v5                                       // 00000000C9AC: 7E0A4505
	v_rcp_f32_e32 v6, v6                                       // 00000000C9B0: 7E0C4506
	v_rcp_f32_e32 v7, v7                                       // 00000000C9B4: 7E0E4507
	v_mul_f32_e32 v92, v92, v4                                 // 00000000C9B8: 0AB8095C
	v_mul_f32_e32 v93, v93, v5                                 // 00000000C9BC: 0ABA0B5D
	v_mul_f32_e32 v94, v94, v6                                 // 00000000C9C0: 0ABC0D5E
	v_mul_f32_e32 v95, v95, v7                                 // 00000000C9C4: 0ABE0F5F
	v_mul_f32_e32 v92, v92, v156                               // 00000000C9C8: 0AB9395C
	v_mul_f32_e32 v93, v93, v157                               // 00000000C9CC: 0ABB3B5D
	v_mul_f32_e32 v94, v94, v158                               // 00000000C9D0: 0ABD3D5E
	v_mul_f32_e32 v95, v95, v159                               // 00000000C9D4: 0ABF3F5F
	v_mul_f32_e64 v4, -v96, s6                                 // 00000000C9D8: D1050004 20000D60
	v_mul_f32_e64 v5, -v97, s6                                 // 00000000C9E0: D1050005 20000D61
	v_mul_f32_e64 v6, -v98, s6                                 // 00000000C9E8: D1050006 20000D62
	v_mul_f32_e64 v7, -v99, s6                                 // 00000000C9F0: D1050007 20000D63
	v_exp_f32_e32 v4, v4                                       // 00000000C9F8: 7E084104
	v_exp_f32_e32 v5, v5                                       // 00000000C9FC: 7E0A4105
	v_exp_f32_e32 v6, v6                                       // 00000000CA00: 7E0C4106
	v_exp_f32_e32 v7, v7                                       // 00000000CA04: 7E0E4107
	v_add_f32_e64 v4, v4, 1.0                                  // 00000000CA08: D1010004 0001E504
	v_add_f32_e64 v5, v5, 1.0                                  // 00000000CA10: D1010005 0001E505
	v_add_f32_e64 v6, v6, 1.0                                  // 00000000CA18: D1010006 0001E506
	v_add_f32_e64 v7, v7, 1.0                                  // 00000000CA20: D1010007 0001E507
	v_rcp_f32_e32 v4, v4                                       // 00000000CA28: 7E084504
	v_rcp_f32_e32 v5, v5                                       // 00000000CA2C: 7E0A4505
	v_rcp_f32_e32 v6, v6                                       // 00000000CA30: 7E0C4506
	v_rcp_f32_e32 v7, v7                                       // 00000000CA34: 7E0E4507
	v_mul_f32_e32 v96, v96, v4                                 // 00000000CA38: 0AC00960
	v_mul_f32_e32 v97, v97, v5                                 // 00000000CA3C: 0AC20B61
	v_mul_f32_e32 v98, v98, v6                                 // 00000000CA40: 0AC40D62
	v_mul_f32_e32 v99, v99, v7                                 // 00000000CA44: 0AC60F63
	v_mul_f32_e32 v96, v96, v160                               // 00000000CA48: 0AC14160
	v_mul_f32_e32 v97, v97, v161                               // 00000000CA4C: 0AC34361
	v_mul_f32_e32 v98, v98, v162                               // 00000000CA50: 0AC54562
	v_mul_f32_e32 v99, v99, v163                               // 00000000CA54: 0AC74763
	v_mul_f32_e64 v4, -v100, s6                                // 00000000CA58: D1050004 20000D64
	v_mul_f32_e64 v5, -v101, s6                                // 00000000CA60: D1050005 20000D65
	v_mul_f32_e64 v6, -v102, s6                                // 00000000CA68: D1050006 20000D66
	v_mul_f32_e64 v7, -v103, s6                                // 00000000CA70: D1050007 20000D67
	v_exp_f32_e32 v4, v4                                       // 00000000CA78: 7E084104
	v_exp_f32_e32 v5, v5                                       // 00000000CA7C: 7E0A4105
	v_exp_f32_e32 v6, v6                                       // 00000000CA80: 7E0C4106
	v_exp_f32_e32 v7, v7                                       // 00000000CA84: 7E0E4107
	v_add_f32_e64 v4, v4, 1.0                                  // 00000000CA88: D1010004 0001E504
	v_add_f32_e64 v5, v5, 1.0                                  // 00000000CA90: D1010005 0001E505
	v_add_f32_e64 v6, v6, 1.0                                  // 00000000CA98: D1010006 0001E506
	v_add_f32_e64 v7, v7, 1.0                                  // 00000000CAA0: D1010007 0001E507
	v_rcp_f32_e32 v4, v4                                       // 00000000CAA8: 7E084504
	v_rcp_f32_e32 v5, v5                                       // 00000000CAAC: 7E0A4505
	v_rcp_f32_e32 v6, v6                                       // 00000000CAB0: 7E0C4506
	v_rcp_f32_e32 v7, v7                                       // 00000000CAB4: 7E0E4507
	v_mul_f32_e32 v100, v100, v4                               // 00000000CAB8: 0AC80964
	v_mul_f32_e32 v101, v101, v5                               // 00000000CABC: 0ACA0B65
	v_mul_f32_e32 v102, v102, v6                               // 00000000CAC0: 0ACC0D66
	v_mul_f32_e32 v103, v103, v7                               // 00000000CAC4: 0ACE0F67
	v_mul_f32_e32 v100, v100, v164                             // 00000000CAC8: 0AC94964
	v_mul_f32_e32 v101, v101, v165                             // 00000000CACC: 0ACB4B65
	v_mul_f32_e32 v102, v102, v166                             // 00000000CAD0: 0ACD4D66
	v_mul_f32_e32 v103, v103, v167                             // 00000000CAD4: 0ACF4F67
	v_mul_f32_e64 v4, -v104, s6                                // 00000000CAD8: D1050004 20000D68
	v_mul_f32_e64 v5, -v105, s6                                // 00000000CAE0: D1050005 20000D69
	v_mul_f32_e64 v6, -v106, s6                                // 00000000CAE8: D1050006 20000D6A
	v_mul_f32_e64 v7, -v107, s6                                // 00000000CAF0: D1050007 20000D6B
	v_exp_f32_e32 v4, v4                                       // 00000000CAF8: 7E084104
	v_exp_f32_e32 v5, v5                                       // 00000000CAFC: 7E0A4105
	v_exp_f32_e32 v6, v6                                       // 00000000CB00: 7E0C4106
	v_exp_f32_e32 v7, v7                                       // 00000000CB04: 7E0E4107
	v_add_f32_e64 v4, v4, 1.0                                  // 00000000CB08: D1010004 0001E504
	v_add_f32_e64 v5, v5, 1.0                                  // 00000000CB10: D1010005 0001E505
	v_add_f32_e64 v6, v6, 1.0                                  // 00000000CB18: D1010006 0001E506
	v_add_f32_e64 v7, v7, 1.0                                  // 00000000CB20: D1010007 0001E507
	v_rcp_f32_e32 v4, v4                                       // 00000000CB28: 7E084504
	v_rcp_f32_e32 v5, v5                                       // 00000000CB2C: 7E0A4505
	v_rcp_f32_e32 v6, v6                                       // 00000000CB30: 7E0C4506
	v_rcp_f32_e32 v7, v7                                       // 00000000CB34: 7E0E4507
	v_mul_f32_e32 v104, v104, v4                               // 00000000CB38: 0AD00968
	v_mul_f32_e32 v105, v105, v5                               // 00000000CB3C: 0AD20B69
	v_mul_f32_e32 v106, v106, v6                               // 00000000CB40: 0AD40D6A
	v_mul_f32_e32 v107, v107, v7                               // 00000000CB44: 0AD60F6B
	v_mul_f32_e32 v104, v104, v168                             // 00000000CB48: 0AD15168
	v_mul_f32_e32 v105, v105, v169                             // 00000000CB4C: 0AD35369
	v_mul_f32_e32 v106, v106, v170                             // 00000000CB50: 0AD5556A
	v_mul_f32_e32 v107, v107, v171                             // 00000000CB54: 0AD7576B
	v_mul_f32_e64 v4, -v108, s6                                // 00000000CB58: D1050004 20000D6C
	v_mul_f32_e64 v5, -v109, s6                                // 00000000CB60: D1050005 20000D6D
	v_mul_f32_e64 v6, -v110, s6                                // 00000000CB68: D1050006 20000D6E
	v_mul_f32_e64 v7, -v111, s6                                // 00000000CB70: D1050007 20000D6F
	v_exp_f32_e32 v4, v4                                       // 00000000CB78: 7E084104
	v_exp_f32_e32 v5, v5                                       // 00000000CB7C: 7E0A4105
	v_exp_f32_e32 v6, v6                                       // 00000000CB80: 7E0C4106
	v_exp_f32_e32 v7, v7                                       // 00000000CB84: 7E0E4107
	v_add_f32_e64 v4, v4, 1.0                                  // 00000000CB88: D1010004 0001E504
	v_add_f32_e64 v5, v5, 1.0                                  // 00000000CB90: D1010005 0001E505
	v_add_f32_e64 v6, v6, 1.0                                  // 00000000CB98: D1010006 0001E506
	v_add_f32_e64 v7, v7, 1.0                                  // 00000000CBA0: D1010007 0001E507
	v_rcp_f32_e32 v4, v4                                       // 00000000CBA8: 7E084504
	v_rcp_f32_e32 v5, v5                                       // 00000000CBAC: 7E0A4505
	v_rcp_f32_e32 v6, v6                                       // 00000000CBB0: 7E0C4506
	v_rcp_f32_e32 v7, v7                                       // 00000000CBB4: 7E0E4507
	v_mul_f32_e32 v108, v108, v4                               // 00000000CBB8: 0AD8096C
	v_mul_f32_e32 v109, v109, v5                               // 00000000CBBC: 0ADA0B6D
	v_mul_f32_e32 v110, v110, v6                               // 00000000CBC0: 0ADC0D6E
	v_mul_f32_e32 v111, v111, v7                               // 00000000CBC4: 0ADE0F6F
	v_mul_f32_e32 v108, v108, v172                             // 00000000CBC8: 0AD9596C
	v_mul_f32_e32 v109, v109, v173                             // 00000000CBCC: 0ADB5B6D
	v_mul_f32_e32 v110, v110, v174                             // 00000000CBD0: 0ADD5D6E
	v_mul_f32_e32 v111, v111, v175                             // 00000000CBD4: 0ADF5F6F
	v_mul_f32_e64 v4, -v112, s6                                // 00000000CBD8: D1050004 20000D70
	v_mul_f32_e64 v5, -v113, s6                                // 00000000CBE0: D1050005 20000D71
	v_mul_f32_e64 v6, -v114, s6                                // 00000000CBE8: D1050006 20000D72
	v_mul_f32_e64 v7, -v115, s6                                // 00000000CBF0: D1050007 20000D73
	v_exp_f32_e32 v4, v4                                       // 00000000CBF8: 7E084104
	v_exp_f32_e32 v5, v5                                       // 00000000CBFC: 7E0A4105
	v_exp_f32_e32 v6, v6                                       // 00000000CC00: 7E0C4106
	v_exp_f32_e32 v7, v7                                       // 00000000CC04: 7E0E4107
	v_add_f32_e64 v4, v4, 1.0                                  // 00000000CC08: D1010004 0001E504
	v_add_f32_e64 v5, v5, 1.0                                  // 00000000CC10: D1010005 0001E505
	v_add_f32_e64 v6, v6, 1.0                                  // 00000000CC18: D1010006 0001E506
	v_add_f32_e64 v7, v7, 1.0                                  // 00000000CC20: D1010007 0001E507
	v_rcp_f32_e32 v4, v4                                       // 00000000CC28: 7E084504
	v_rcp_f32_e32 v5, v5                                       // 00000000CC2C: 7E0A4505
	v_rcp_f32_e32 v6, v6                                       // 00000000CC30: 7E0C4506
	v_rcp_f32_e32 v7, v7                                       // 00000000CC34: 7E0E4507
	v_mul_f32_e32 v112, v112, v4                               // 00000000CC38: 0AE00970
	v_mul_f32_e32 v113, v113, v5                               // 00000000CC3C: 0AE20B71
	v_mul_f32_e32 v114, v114, v6                               // 00000000CC40: 0AE40D72
	v_mul_f32_e32 v115, v115, v7                               // 00000000CC44: 0AE60F73
	v_mul_f32_e32 v112, v112, v176                             // 00000000CC48: 0AE16170
	v_mul_f32_e32 v113, v113, v177                             // 00000000CC4C: 0AE36371
	v_mul_f32_e32 v114, v114, v178                             // 00000000CC50: 0AE56572
	v_mul_f32_e32 v115, v115, v179                             // 00000000CC54: 0AE76773
	v_mul_f32_e64 v4, -v116, s6                                // 00000000CC58: D1050004 20000D74
	v_mul_f32_e64 v5, -v117, s6                                // 00000000CC60: D1050005 20000D75
	v_mul_f32_e64 v6, -v118, s6                                // 00000000CC68: D1050006 20000D76
	v_mul_f32_e64 v7, -v119, s6                                // 00000000CC70: D1050007 20000D77
	v_exp_f32_e32 v4, v4                                       // 00000000CC78: 7E084104
	v_exp_f32_e32 v5, v5                                       // 00000000CC7C: 7E0A4105
	v_exp_f32_e32 v6, v6                                       // 00000000CC80: 7E0C4106
	v_exp_f32_e32 v7, v7                                       // 00000000CC84: 7E0E4107
	v_add_f32_e64 v4, v4, 1.0                                  // 00000000CC88: D1010004 0001E504
	v_add_f32_e64 v5, v5, 1.0                                  // 00000000CC90: D1010005 0001E505
	v_add_f32_e64 v6, v6, 1.0                                  // 00000000CC98: D1010006 0001E506
	v_add_f32_e64 v7, v7, 1.0                                  // 00000000CCA0: D1010007 0001E507
	v_rcp_f32_e32 v4, v4                                       // 00000000CCA8: 7E084504
	v_rcp_f32_e32 v5, v5                                       // 00000000CCAC: 7E0A4505
	v_rcp_f32_e32 v6, v6                                       // 00000000CCB0: 7E0C4506
	v_rcp_f32_e32 v7, v7                                       // 00000000CCB4: 7E0E4507
	v_mul_f32_e32 v116, v116, v4                               // 00000000CCB8: 0AE80974
	v_mul_f32_e32 v117, v117, v5                               // 00000000CCBC: 0AEA0B75
	v_mul_f32_e32 v118, v118, v6                               // 00000000CCC0: 0AEC0D76
	v_mul_f32_e32 v119, v119, v7                               // 00000000CCC4: 0AEE0F77
	v_mul_f32_e32 v116, v116, v180                             // 00000000CCC8: 0AE96974
	v_mul_f32_e32 v117, v117, v181                             // 00000000CCCC: 0AEB6B75
	v_mul_f32_e32 v118, v118, v182                             // 00000000CCD0: 0AED6D76
	v_mul_f32_e32 v119, v119, v183                             // 00000000CCD4: 0AEF6F77
	v_mul_f32_e64 v4, -v120, s6                                // 00000000CCD8: D1050004 20000D78
	v_mul_f32_e64 v5, -v121, s6                                // 00000000CCE0: D1050005 20000D79
	v_mul_f32_e64 v6, -v122, s6                                // 00000000CCE8: D1050006 20000D7A
	v_mul_f32_e64 v7, -v123, s6                                // 00000000CCF0: D1050007 20000D7B
	v_exp_f32_e32 v4, v4                                       // 00000000CCF8: 7E084104
	v_exp_f32_e32 v5, v5                                       // 00000000CCFC: 7E0A4105
	v_exp_f32_e32 v6, v6                                       // 00000000CD00: 7E0C4106
	v_exp_f32_e32 v7, v7                                       // 00000000CD04: 7E0E4107
	v_add_f32_e64 v4, v4, 1.0                                  // 00000000CD08: D1010004 0001E504
	v_add_f32_e64 v5, v5, 1.0                                  // 00000000CD10: D1010005 0001E505
	v_add_f32_e64 v6, v6, 1.0                                  // 00000000CD18: D1010006 0001E506
	v_add_f32_e64 v7, v7, 1.0                                  // 00000000CD20: D1010007 0001E507
	v_rcp_f32_e32 v4, v4                                       // 00000000CD28: 7E084504
	v_rcp_f32_e32 v5, v5                                       // 00000000CD2C: 7E0A4505
	v_rcp_f32_e32 v6, v6                                       // 00000000CD30: 7E0C4506
	v_rcp_f32_e32 v7, v7                                       // 00000000CD34: 7E0E4507
	v_mul_f32_e32 v120, v120, v4                               // 00000000CD38: 0AF00978
	v_mul_f32_e32 v121, v121, v5                               // 00000000CD3C: 0AF20B79
	v_mul_f32_e32 v122, v122, v6                               // 00000000CD40: 0AF40D7A
	v_mul_f32_e32 v123, v123, v7                               // 00000000CD44: 0AF60F7B
	v_mul_f32_e32 v120, v120, v184                             // 00000000CD48: 0AF17178
	v_mul_f32_e32 v121, v121, v185                             // 00000000CD4C: 0AF37379
	v_mul_f32_e32 v122, v122, v186                             // 00000000CD50: 0AF5757A
	v_mul_f32_e32 v123, v123, v187                             // 00000000CD54: 0AF7777B

000000000000cd58 <label_28D9>:
	v_cmp_u_f32_e64 s[46:47], v60, v60                         // 00000000CD58: D048002E 0002793C
	v_add3_u32 v16, v60, v19, 1                                // 00000000CD60: D1FF0010 0206273C
	v_cndmask_b32_e64 v4, v16, v18, s[46:47]                   // 00000000CD68: D1000004 00BA2510
	v_cmp_u_f32_e64 s[46:47], v61, v61                         // 00000000CD70: D048002E 00027B3D
	v_add3_u32 v16, v61, v19, 1                                // 00000000CD78: D1FF0010 0206273D
	v_cndmask_b32_e64 v5, v16, v18, s[46:47]                   // 00000000CD80: D1000005 00BA2510
	v_perm_b32 v60, v5, v4, s52                                // 00000000CD88: D1ED003C 00D20905
	v_cmp_u_f32_e64 s[46:47], v62, v62                         // 00000000CD90: D048002E 00027D3E
	v_add3_u32 v16, v62, v19, 1                                // 00000000CD98: D1FF0010 0206273E
	v_cndmask_b32_e64 v4, v16, v18, s[46:47]                   // 00000000CDA0: D1000004 00BA2510
	v_cmp_u_f32_e64 s[46:47], v63, v63                         // 00000000CDA8: D048002E 00027F3F
	v_add3_u32 v16, v63, v19, 1                                // 00000000CDB0: D1FF0010 0206273F
	v_cndmask_b32_e64 v5, v16, v18, s[46:47]                   // 00000000CDB8: D1000005 00BA2510
	v_perm_b32 v61, v5, v4, s52                                // 00000000CDC0: D1ED003D 00D20905
	v_cmp_u_f32_e64 s[46:47], v64, v64                         // 00000000CDC8: D048002E 00028140
	v_add3_u32 v16, v64, v19, 1                                // 00000000CDD0: D1FF0010 02062740
	v_cndmask_b32_e64 v4, v16, v18, s[46:47]                   // 00000000CDD8: D1000004 00BA2510
	v_cmp_u_f32_e64 s[46:47], v65, v65                         // 00000000CDE0: D048002E 00028341
	v_add3_u32 v16, v65, v19, 1                                // 00000000CDE8: D1FF0010 02062741
	v_cndmask_b32_e64 v5, v16, v18, s[46:47]                   // 00000000CDF0: D1000005 00BA2510
	v_perm_b32 v62, v5, v4, s52                                // 00000000CDF8: D1ED003E 00D20905
	v_cmp_u_f32_e64 s[46:47], v66, v66                         // 00000000CE00: D048002E 00028542
	v_add3_u32 v16, v66, v19, 1                                // 00000000CE08: D1FF0010 02062742
	v_cndmask_b32_e64 v4, v16, v18, s[46:47]                   // 00000000CE10: D1000004 00BA2510
	v_cmp_u_f32_e64 s[46:47], v67, v67                         // 00000000CE18: D048002E 00028743
	v_add3_u32 v16, v67, v19, 1                                // 00000000CE20: D1FF0010 02062743
	v_cndmask_b32_e64 v5, v16, v18, s[46:47]                   // 00000000CE28: D1000005 00BA2510
	v_perm_b32 v63, v5, v4, s52                                // 00000000CE30: D1ED003F 00D20905
	v_cmp_u_f32_e64 s[46:47], v68, v68                         // 00000000CE38: D048002E 00028944
	v_add3_u32 v16, v68, v19, 1                                // 00000000CE40: D1FF0010 02062744
	v_cndmask_b32_e64 v4, v16, v18, s[46:47]                   // 00000000CE48: D1000004 00BA2510
	v_cmp_u_f32_e64 s[46:47], v69, v69                         // 00000000CE50: D048002E 00028B45
	v_add3_u32 v16, v69, v19, 1                                // 00000000CE58: D1FF0010 02062745
	v_cndmask_b32_e64 v5, v16, v18, s[46:47]                   // 00000000CE60: D1000005 00BA2510
	v_perm_b32 v64, v5, v4, s52                                // 00000000CE68: D1ED0040 00D20905
	v_cmp_u_f32_e64 s[46:47], v70, v70                         // 00000000CE70: D048002E 00028D46
	v_add3_u32 v16, v70, v19, 1                                // 00000000CE78: D1FF0010 02062746
	v_cndmask_b32_e64 v4, v16, v18, s[46:47]                   // 00000000CE80: D1000004 00BA2510
	v_cmp_u_f32_e64 s[46:47], v71, v71                         // 00000000CE88: D048002E 00028F47
	v_add3_u32 v16, v71, v19, 1                                // 00000000CE90: D1FF0010 02062747
	v_cndmask_b32_e64 v5, v16, v18, s[46:47]                   // 00000000CE98: D1000005 00BA2510
	v_perm_b32 v65, v5, v4, s52                                // 00000000CEA0: D1ED0041 00D20905
	v_cmp_u_f32_e64 s[46:47], v72, v72                         // 00000000CEA8: D048002E 00029148
	v_add3_u32 v16, v72, v19, 1                                // 00000000CEB0: D1FF0010 02062748
	v_cndmask_b32_e64 v4, v16, v18, s[46:47]                   // 00000000CEB8: D1000004 00BA2510
	v_cmp_u_f32_e64 s[46:47], v73, v73                         // 00000000CEC0: D048002E 00029349
	v_add3_u32 v16, v73, v19, 1                                // 00000000CEC8: D1FF0010 02062749
	v_cndmask_b32_e64 v5, v16, v18, s[46:47]                   // 00000000CED0: D1000005 00BA2510
	v_perm_b32 v66, v5, v4, s52                                // 00000000CED8: D1ED0042 00D20905
	v_cmp_u_f32_e64 s[46:47], v74, v74                         // 00000000CEE0: D048002E 0002954A
	v_add3_u32 v16, v74, v19, 1                                // 00000000CEE8: D1FF0010 0206274A
	v_cndmask_b32_e64 v4, v16, v18, s[46:47]                   // 00000000CEF0: D1000004 00BA2510
	v_cmp_u_f32_e64 s[46:47], v75, v75                         // 00000000CEF8: D048002E 0002974B
	v_add3_u32 v16, v75, v19, 1                                // 00000000CF00: D1FF0010 0206274B
	v_cndmask_b32_e64 v5, v16, v18, s[46:47]                   // 00000000CF08: D1000005 00BA2510
	v_perm_b32 v67, v5, v4, s52                                // 00000000CF10: D1ED0043 00D20905
	v_cmp_u_f32_e64 s[46:47], v76, v76                         // 00000000CF18: D048002E 0002994C
	v_add3_u32 v16, v76, v19, 1                                // 00000000CF20: D1FF0010 0206274C
	v_cndmask_b32_e64 v4, v16, v18, s[46:47]                   // 00000000CF28: D1000004 00BA2510
	v_cmp_u_f32_e64 s[46:47], v77, v77                         // 00000000CF30: D048002E 00029B4D
	v_add3_u32 v16, v77, v19, 1                                // 00000000CF38: D1FF0010 0206274D
	v_cndmask_b32_e64 v5, v16, v18, s[46:47]                   // 00000000CF40: D1000005 00BA2510
	v_perm_b32 v68, v5, v4, s52                                // 00000000CF48: D1ED0044 00D20905
	v_cmp_u_f32_e64 s[46:47], v78, v78                         // 00000000CF50: D048002E 00029D4E
	v_add3_u32 v16, v78, v19, 1                                // 00000000CF58: D1FF0010 0206274E
	v_cndmask_b32_e64 v4, v16, v18, s[46:47]                   // 00000000CF60: D1000004 00BA2510
	v_cmp_u_f32_e64 s[46:47], v79, v79                         // 00000000CF68: D048002E 00029F4F
	v_add3_u32 v16, v79, v19, 1                                // 00000000CF70: D1FF0010 0206274F
	v_cndmask_b32_e64 v5, v16, v18, s[46:47]                   // 00000000CF78: D1000005 00BA2510
	v_perm_b32 v69, v5, v4, s52                                // 00000000CF80: D1ED0045 00D20905
	v_cmp_u_f32_e64 s[46:47], v80, v80                         // 00000000CF88: D048002E 0002A150
	v_add3_u32 v16, v80, v19, 1                                // 00000000CF90: D1FF0010 02062750
	v_cndmask_b32_e64 v4, v16, v18, s[46:47]                   // 00000000CF98: D1000004 00BA2510
	v_cmp_u_f32_e64 s[46:47], v81, v81                         // 00000000CFA0: D048002E 0002A351
	v_add3_u32 v16, v81, v19, 1                                // 00000000CFA8: D1FF0010 02062751
	v_cndmask_b32_e64 v5, v16, v18, s[46:47]                   // 00000000CFB0: D1000005 00BA2510
	v_perm_b32 v70, v5, v4, s52                                // 00000000CFB8: D1ED0046 00D20905
	v_cmp_u_f32_e64 s[46:47], v82, v82                         // 00000000CFC0: D048002E 0002A552
	v_add3_u32 v16, v82, v19, 1                                // 00000000CFC8: D1FF0010 02062752
	v_cndmask_b32_e64 v4, v16, v18, s[46:47]                   // 00000000CFD0: D1000004 00BA2510
	v_cmp_u_f32_e64 s[46:47], v83, v83                         // 00000000CFD8: D048002E 0002A753
	v_add3_u32 v16, v83, v19, 1                                // 00000000CFE0: D1FF0010 02062753
	v_cndmask_b32_e64 v5, v16, v18, s[46:47]                   // 00000000CFE8: D1000005 00BA2510
	v_perm_b32 v71, v5, v4, s52                                // 00000000CFF0: D1ED0047 00D20905
	v_cmp_u_f32_e64 s[46:47], v84, v84                         // 00000000CFF8: D048002E 0002A954
	v_add3_u32 v16, v84, v19, 1                                // 00000000D000: D1FF0010 02062754
	v_cndmask_b32_e64 v4, v16, v18, s[46:47]                   // 00000000D008: D1000004 00BA2510
	v_cmp_u_f32_e64 s[46:47], v85, v85                         // 00000000D010: D048002E 0002AB55
	v_add3_u32 v16, v85, v19, 1                                // 00000000D018: D1FF0010 02062755
	v_cndmask_b32_e64 v5, v16, v18, s[46:47]                   // 00000000D020: D1000005 00BA2510
	v_perm_b32 v72, v5, v4, s52                                // 00000000D028: D1ED0048 00D20905
	v_cmp_u_f32_e64 s[46:47], v86, v86                         // 00000000D030: D048002E 0002AD56
	v_add3_u32 v16, v86, v19, 1                                // 00000000D038: D1FF0010 02062756
	v_cndmask_b32_e64 v4, v16, v18, s[46:47]                   // 00000000D040: D1000004 00BA2510
	v_cmp_u_f32_e64 s[46:47], v87, v87                         // 00000000D048: D048002E 0002AF57
	v_add3_u32 v16, v87, v19, 1                                // 00000000D050: D1FF0010 02062757
	v_cndmask_b32_e64 v5, v16, v18, s[46:47]                   // 00000000D058: D1000005 00BA2510
	v_perm_b32 v73, v5, v4, s52                                // 00000000D060: D1ED0049 00D20905
	v_cmp_u_f32_e64 s[46:47], v88, v88                         // 00000000D068: D048002E 0002B158
	v_add3_u32 v16, v88, v19, 1                                // 00000000D070: D1FF0010 02062758
	v_cndmask_b32_e64 v4, v16, v18, s[46:47]                   // 00000000D078: D1000004 00BA2510
	v_cmp_u_f32_e64 s[46:47], v89, v89                         // 00000000D080: D048002E 0002B359
	v_add3_u32 v16, v89, v19, 1                                // 00000000D088: D1FF0010 02062759
	v_cndmask_b32_e64 v5, v16, v18, s[46:47]                   // 00000000D090: D1000005 00BA2510
	v_perm_b32 v74, v5, v4, s52                                // 00000000D098: D1ED004A 00D20905
	v_cmp_u_f32_e64 s[46:47], v90, v90                         // 00000000D0A0: D048002E 0002B55A
	v_add3_u32 v16, v90, v19, 1                                // 00000000D0A8: D1FF0010 0206275A
	v_cndmask_b32_e64 v4, v16, v18, s[46:47]                   // 00000000D0B0: D1000004 00BA2510
	v_cmp_u_f32_e64 s[46:47], v91, v91                         // 00000000D0B8: D048002E 0002B75B
	v_add3_u32 v16, v91, v19, 1                                // 00000000D0C0: D1FF0010 0206275B
	v_cndmask_b32_e64 v5, v16, v18, s[46:47]                   // 00000000D0C8: D1000005 00BA2510
	v_perm_b32 v75, v5, v4, s52                                // 00000000D0D0: D1ED004B 00D20905
	v_cmp_u_f32_e64 s[46:47], v92, v92                         // 00000000D0D8: D048002E 0002B95C
	v_add3_u32 v16, v92, v19, 1                                // 00000000D0E0: D1FF0010 0206275C
	v_cndmask_b32_e64 v4, v16, v18, s[46:47]                   // 00000000D0E8: D1000004 00BA2510
	v_cmp_u_f32_e64 s[46:47], v93, v93                         // 00000000D0F0: D048002E 0002BB5D
	v_add3_u32 v16, v93, v19, 1                                // 00000000D0F8: D1FF0010 0206275D
	v_cndmask_b32_e64 v5, v16, v18, s[46:47]                   // 00000000D100: D1000005 00BA2510
	v_perm_b32 v76, v5, v4, s52                                // 00000000D108: D1ED004C 00D20905
	v_cmp_u_f32_e64 s[46:47], v94, v94                         // 00000000D110: D048002E 0002BD5E
	v_add3_u32 v16, v94, v19, 1                                // 00000000D118: D1FF0010 0206275E
	v_cndmask_b32_e64 v4, v16, v18, s[46:47]                   // 00000000D120: D1000004 00BA2510
	v_cmp_u_f32_e64 s[46:47], v95, v95                         // 00000000D128: D048002E 0002BF5F
	v_add3_u32 v16, v95, v19, 1                                // 00000000D130: D1FF0010 0206275F
	v_cndmask_b32_e64 v5, v16, v18, s[46:47]                   // 00000000D138: D1000005 00BA2510
	v_perm_b32 v77, v5, v4, s52                                // 00000000D140: D1ED004D 00D20905
	v_cmp_u_f32_e64 s[46:47], v96, v96                         // 00000000D148: D048002E 0002C160
	v_add3_u32 v16, v96, v19, 1                                // 00000000D150: D1FF0010 02062760
	v_cndmask_b32_e64 v4, v16, v18, s[46:47]                   // 00000000D158: D1000004 00BA2510
	v_cmp_u_f32_e64 s[46:47], v97, v97                         // 00000000D160: D048002E 0002C361
	v_add3_u32 v16, v97, v19, 1                                // 00000000D168: D1FF0010 02062761
	v_cndmask_b32_e64 v5, v16, v18, s[46:47]                   // 00000000D170: D1000005 00BA2510
	v_perm_b32 v78, v5, v4, s52                                // 00000000D178: D1ED004E 00D20905
	v_cmp_u_f32_e64 s[46:47], v98, v98                         // 00000000D180: D048002E 0002C562
	v_add3_u32 v16, v98, v19, 1                                // 00000000D188: D1FF0010 02062762
	v_cndmask_b32_e64 v4, v16, v18, s[46:47]                   // 00000000D190: D1000004 00BA2510
	v_cmp_u_f32_e64 s[46:47], v99, v99                         // 00000000D198: D048002E 0002C763
	v_add3_u32 v16, v99, v19, 1                                // 00000000D1A0: D1FF0010 02062763
	v_cndmask_b32_e64 v5, v16, v18, s[46:47]                   // 00000000D1A8: D1000005 00BA2510
	v_perm_b32 v79, v5, v4, s52                                // 00000000D1B0: D1ED004F 00D20905
	v_cmp_u_f32_e64 s[46:47], v100, v100                       // 00000000D1B8: D048002E 0002C964
	v_add3_u32 v16, v100, v19, 1                               // 00000000D1C0: D1FF0010 02062764
	v_cndmask_b32_e64 v4, v16, v18, s[46:47]                   // 00000000D1C8: D1000004 00BA2510
	v_cmp_u_f32_e64 s[46:47], v101, v101                       // 00000000D1D0: D048002E 0002CB65
	v_add3_u32 v16, v101, v19, 1                               // 00000000D1D8: D1FF0010 02062765
	v_cndmask_b32_e64 v5, v16, v18, s[46:47]                   // 00000000D1E0: D1000005 00BA2510
	v_perm_b32 v80, v5, v4, s52                                // 00000000D1E8: D1ED0050 00D20905
	v_cmp_u_f32_e64 s[46:47], v102, v102                       // 00000000D1F0: D048002E 0002CD66
	v_add3_u32 v16, v102, v19, 1                               // 00000000D1F8: D1FF0010 02062766
	v_cndmask_b32_e64 v4, v16, v18, s[46:47]                   // 00000000D200: D1000004 00BA2510
	v_cmp_u_f32_e64 s[46:47], v103, v103                       // 00000000D208: D048002E 0002CF67
	v_add3_u32 v16, v103, v19, 1                               // 00000000D210: D1FF0010 02062767
	v_cndmask_b32_e64 v5, v16, v18, s[46:47]                   // 00000000D218: D1000005 00BA2510
	v_perm_b32 v81, v5, v4, s52                                // 00000000D220: D1ED0051 00D20905
	v_cmp_u_f32_e64 s[46:47], v104, v104                       // 00000000D228: D048002E 0002D168
	v_add3_u32 v16, v104, v19, 1                               // 00000000D230: D1FF0010 02062768
	v_cndmask_b32_e64 v4, v16, v18, s[46:47]                   // 00000000D238: D1000004 00BA2510
	v_cmp_u_f32_e64 s[46:47], v105, v105                       // 00000000D240: D048002E 0002D369
	v_add3_u32 v16, v105, v19, 1                               // 00000000D248: D1FF0010 02062769
	v_cndmask_b32_e64 v5, v16, v18, s[46:47]                   // 00000000D250: D1000005 00BA2510
	v_perm_b32 v82, v5, v4, s52                                // 00000000D258: D1ED0052 00D20905
	v_cmp_u_f32_e64 s[46:47], v106, v106                       // 00000000D260: D048002E 0002D56A
	v_add3_u32 v16, v106, v19, 1                               // 00000000D268: D1FF0010 0206276A
	v_cndmask_b32_e64 v4, v16, v18, s[46:47]                   // 00000000D270: D1000004 00BA2510
	v_cmp_u_f32_e64 s[46:47], v107, v107                       // 00000000D278: D048002E 0002D76B
	v_add3_u32 v16, v107, v19, 1                               // 00000000D280: D1FF0010 0206276B
	v_cndmask_b32_e64 v5, v16, v18, s[46:47]                   // 00000000D288: D1000005 00BA2510
	v_perm_b32 v83, v5, v4, s52                                // 00000000D290: D1ED0053 00D20905
	v_cmp_u_f32_e64 s[46:47], v108, v108                       // 00000000D298: D048002E 0002D96C
	v_add3_u32 v16, v108, v19, 1                               // 00000000D2A0: D1FF0010 0206276C
	v_cndmask_b32_e64 v4, v16, v18, s[46:47]                   // 00000000D2A8: D1000004 00BA2510
	v_cmp_u_f32_e64 s[46:47], v109, v109                       // 00000000D2B0: D048002E 0002DB6D
	v_add3_u32 v16, v109, v19, 1                               // 00000000D2B8: D1FF0010 0206276D
	v_cndmask_b32_e64 v5, v16, v18, s[46:47]                   // 00000000D2C0: D1000005 00BA2510
	v_perm_b32 v84, v5, v4, s52                                // 00000000D2C8: D1ED0054 00D20905
	v_cmp_u_f32_e64 s[46:47], v110, v110                       // 00000000D2D0: D048002E 0002DD6E
	v_add3_u32 v16, v110, v19, 1                               // 00000000D2D8: D1FF0010 0206276E
	v_cndmask_b32_e64 v4, v16, v18, s[46:47]                   // 00000000D2E0: D1000004 00BA2510
	v_cmp_u_f32_e64 s[46:47], v111, v111                       // 00000000D2E8: D048002E 0002DF6F
	v_add3_u32 v16, v111, v19, 1                               // 00000000D2F0: D1FF0010 0206276F
	v_cndmask_b32_e64 v5, v16, v18, s[46:47]                   // 00000000D2F8: D1000005 00BA2510
	v_perm_b32 v85, v5, v4, s52                                // 00000000D300: D1ED0055 00D20905
	v_cmp_u_f32_e64 s[46:47], v112, v112                       // 00000000D308: D048002E 0002E170
	v_add3_u32 v16, v112, v19, 1                               // 00000000D310: D1FF0010 02062770
	v_cndmask_b32_e64 v4, v16, v18, s[46:47]                   // 00000000D318: D1000004 00BA2510
	v_cmp_u_f32_e64 s[46:47], v113, v113                       // 00000000D320: D048002E 0002E371
	v_add3_u32 v16, v113, v19, 1                               // 00000000D328: D1FF0010 02062771
	v_cndmask_b32_e64 v5, v16, v18, s[46:47]                   // 00000000D330: D1000005 00BA2510
	v_perm_b32 v86, v5, v4, s52                                // 00000000D338: D1ED0056 00D20905
	v_cmp_u_f32_e64 s[46:47], v114, v114                       // 00000000D340: D048002E 0002E572
	v_add3_u32 v16, v114, v19, 1                               // 00000000D348: D1FF0010 02062772
	v_cndmask_b32_e64 v4, v16, v18, s[46:47]                   // 00000000D350: D1000004 00BA2510
	v_cmp_u_f32_e64 s[46:47], v115, v115                       // 00000000D358: D048002E 0002E773
	v_add3_u32 v16, v115, v19, 1                               // 00000000D360: D1FF0010 02062773
	v_cndmask_b32_e64 v5, v16, v18, s[46:47]                   // 00000000D368: D1000005 00BA2510
	v_perm_b32 v87, v5, v4, s52                                // 00000000D370: D1ED0057 00D20905
	v_cmp_u_f32_e64 s[46:47], v116, v116                       // 00000000D378: D048002E 0002E974
	v_add3_u32 v16, v116, v19, 1                               // 00000000D380: D1FF0010 02062774
	v_cndmask_b32_e64 v4, v16, v18, s[46:47]                   // 00000000D388: D1000004 00BA2510
	v_cmp_u_f32_e64 s[46:47], v117, v117                       // 00000000D390: D048002E 0002EB75
	v_add3_u32 v16, v117, v19, 1                               // 00000000D398: D1FF0010 02062775
	v_cndmask_b32_e64 v5, v16, v18, s[46:47]                   // 00000000D3A0: D1000005 00BA2510
	v_perm_b32 v88, v5, v4, s52                                // 00000000D3A8: D1ED0058 00D20905
	v_cmp_u_f32_e64 s[46:47], v118, v118                       // 00000000D3B0: D048002E 0002ED76
	v_add3_u32 v16, v118, v19, 1                               // 00000000D3B8: D1FF0010 02062776
	v_cndmask_b32_e64 v4, v16, v18, s[46:47]                   // 00000000D3C0: D1000004 00BA2510
	v_cmp_u_f32_e64 s[46:47], v119, v119                       // 00000000D3C8: D048002E 0002EF77
	v_add3_u32 v16, v119, v19, 1                               // 00000000D3D0: D1FF0010 02062777
	v_cndmask_b32_e64 v5, v16, v18, s[46:47]                   // 00000000D3D8: D1000005 00BA2510
	v_perm_b32 v89, v5, v4, s52                                // 00000000D3E0: D1ED0059 00D20905
	v_cmp_u_f32_e64 s[46:47], v120, v120                       // 00000000D3E8: D048002E 0002F178
	v_add3_u32 v16, v120, v19, 1                               // 00000000D3F0: D1FF0010 02062778
	v_cndmask_b32_e64 v4, v16, v18, s[46:47]                   // 00000000D3F8: D1000004 00BA2510
	v_cmp_u_f32_e64 s[46:47], v121, v121                       // 00000000D400: D048002E 0002F379
	v_add3_u32 v16, v121, v19, 1                               // 00000000D408: D1FF0010 02062779
	v_cndmask_b32_e64 v5, v16, v18, s[46:47]                   // 00000000D410: D1000005 00BA2510
	v_perm_b32 v90, v5, v4, s52                                // 00000000D418: D1ED005A 00D20905
	v_cmp_u_f32_e64 s[46:47], v122, v122                       // 00000000D420: D048002E 0002F57A
	v_add3_u32 v16, v122, v19, 1                               // 00000000D428: D1FF0010 0206277A
	v_cndmask_b32_e64 v4, v16, v18, s[46:47]                   // 00000000D430: D1000004 00BA2510
	v_cmp_u_f32_e64 s[46:47], v123, v123                       // 00000000D438: D048002E 0002F77B
	v_add3_u32 v16, v123, v19, 1                               // 00000000D440: D1FF0010 0206277B
	v_cndmask_b32_e64 v5, v16, v18, s[46:47]                   // 00000000D448: D1000005 00BA2510
	v_perm_b32 v91, v5, v4, s52                                // 00000000D450: D1ED005B 00D20905
	ds_write_b64 v20, v[60:61]                                 // 00000000D458: D89A0000 00003C14
	ds_write_b64 v20, v[62:63] offset:8704                     // 00000000D460: D89A2200 00003E14
	ds_write_b64 v20, v[64:65] offset:17408                    // 00000000D468: D89A4400 00004014
	ds_write_b64 v20, v[66:67] offset:26112                    // 00000000D470: D89A6600 00004214
	ds_write_b64 v20, v[68:69] offset:2176                     // 00000000D478: D89A0880 00004414
	ds_write_b64 v20, v[70:71] offset:10880                    // 00000000D480: D89A2A80 00004614
	ds_write_b64 v20, v[72:73] offset:19584                    // 00000000D488: D89A4C80 00004814
	ds_write_b64 v20, v[74:75] offset:28288                    // 00000000D490: D89A6E80 00004A14
	ds_write_b64 v20, v[76:77] offset:4352                     // 00000000D498: D89A1100 00004C14
	ds_write_b64 v20, v[78:79] offset:13056                    // 00000000D4A0: D89A3300 00004E14
	ds_write_b64 v20, v[80:81] offset:21760                    // 00000000D4A8: D89A5500 00005014
	ds_write_b64 v20, v[82:83] offset:30464                    // 00000000D4B0: D89A7700 00005214
	ds_write_b64 v20, v[84:85] offset:6528                     // 00000000D4B8: D89A1980 00005414
	ds_write_b64 v20, v[86:87] offset:15232                    // 00000000D4C0: D89A3B80 00005614
	ds_write_b64 v20, v[88:89] offset:23936                    // 00000000D4C8: D89A5D80 00005814
	ds_write_b64 v20, v[90:91] offset:32640                    // 00000000D4D0: D89A7F80 00005A14
	v_lshrrev_b32_e32 v4, 5, v0                                // 00000000D4D8: 20080085
	v_xor_b32_e32 v5, 1, v4                                    // 00000000D4DC: 2A0A0881
	s_mul_i32 s60, s65, 2                                      // 00000000D4E0: 923C8241
	s_cmp_eq_u32 s88, 0                                        // 00000000D4E4: BF068058
	s_cselect_b32 s61, 1, 4                                    // 00000000D4E8: 853D8481
	s_mul_i32 s60, s61, s60                                    // 00000000D4EC: 923C3C3D
	v_readlane_b32 s82, v3, 0                                  // 00000000D4F0: D2890052 00010103
	s_lshr_b32 s61, s82, 24                                    // 00000000D4F8: 8F3D9852
	s_and_b32 s82, s82, 0xffffff                               // 00000000D4FC: 8652FF52 00FFFFFF
	s_mul_i32 s82, s82, s71                                    // 00000000D504: 92524752
	s_mul_i32 s61, s60, s61                                    // 00000000D508: 923D3D3C
	s_add_u32 s82, s82, s61                                    // 00000000D50C: 80523D52
	v_mul_lo_u32 v6, v5, s82                                   // 00000000D510: D2850006 0000A505
	v_readlane_b32 s82, v3, 1                                  // 00000000D518: D2890052 00010303
	s_lshr_b32 s61, s82, 24                                    // 00000000D520: 8F3D9852
	s_and_b32 s82, s82, 0xffffff                               // 00000000D524: 8652FF52 00FFFFFF
	s_mul_i32 s82, s82, s71                                    // 00000000D52C: 92524752
	s_mul_i32 s61, s60, s61                                    // 00000000D530: 923D3D3C
	s_add_u32 s82, s82, s61                                    // 00000000D534: 80523D52
	v_mul_lo_u32 v7, v4, s82                                   // 00000000D538: D2850007 0000A504
	v_add_u32_e32 v46, v6, v7                                  // 00000000D540: 685C0F06
	v_readlane_b32 s82, v3, 2                                  // 00000000D544: D2890052 00010503
	s_lshr_b32 s61, s82, 24                                    // 00000000D54C: 8F3D9852
	s_and_b32 s82, s82, 0xffffff                               // 00000000D550: 8652FF52 00FFFFFF
	s_mul_i32 s82, s82, s71                                    // 00000000D558: 92524752
	s_mul_i32 s61, s60, s61                                    // 00000000D55C: 923D3D3C
	s_add_u32 s82, s82, s61                                    // 00000000D560: 80523D52
	v_mul_lo_u32 v6, v5, s82                                   // 00000000D564: D2850006 0000A505
	v_readlane_b32 s82, v3, 3                                  // 00000000D56C: D2890052 00010703
	s_lshr_b32 s61, s82, 24                                    // 00000000D574: 8F3D9852
	s_and_b32 s82, s82, 0xffffff                               // 00000000D578: 8652FF52 00FFFFFF
	s_mul_i32 s82, s82, s71                                    // 00000000D580: 92524752
	s_mul_i32 s61, s60, s61                                    // 00000000D584: 923D3D3C
	s_add_u32 s82, s82, s61                                    // 00000000D588: 80523D52
	v_mul_lo_u32 v7, v4, s82                                   // 00000000D58C: D2850007 0000A504
	v_add_u32_e32 v47, v6, v7                                  // 00000000D594: 685E0F06
	v_readlane_b32 s82, v3, 4                                  // 00000000D598: D2890052 00010903
	s_lshr_b32 s61, s82, 24                                    // 00000000D5A0: 8F3D9852
	s_and_b32 s82, s82, 0xffffff                               // 00000000D5A4: 8652FF52 00FFFFFF
	s_mul_i32 s82, s82, s71                                    // 00000000D5AC: 92524752
	s_mul_i32 s61, s60, s61                                    // 00000000D5B0: 923D3D3C
	s_add_u32 s82, s82, s61                                    // 00000000D5B4: 80523D52
	v_mul_lo_u32 v6, v5, s82                                   // 00000000D5B8: D2850006 0000A505
	v_readlane_b32 s82, v3, 5                                  // 00000000D5C0: D2890052 00010B03
	s_lshr_b32 s61, s82, 24                                    // 00000000D5C8: 8F3D9852
	s_and_b32 s82, s82, 0xffffff                               // 00000000D5CC: 8652FF52 00FFFFFF
	s_mul_i32 s82, s82, s71                                    // 00000000D5D4: 92524752
	s_mul_i32 s61, s60, s61                                    // 00000000D5D8: 923D3D3C
	s_add_u32 s82, s82, s61                                    // 00000000D5DC: 80523D52
	v_mul_lo_u32 v7, v4, s82                                   // 00000000D5E0: D2850007 0000A504
	v_add_u32_e32 v48, v6, v7                                  // 00000000D5E8: 68600F06
	v_readlane_b32 s82, v3, 6                                  // 00000000D5EC: D2890052 00010D03
	s_lshr_b32 s61, s82, 24                                    // 00000000D5F4: 8F3D9852
	s_and_b32 s82, s82, 0xffffff                               // 00000000D5F8: 8652FF52 00FFFFFF
	s_mul_i32 s82, s82, s71                                    // 00000000D600: 92524752
	s_mul_i32 s61, s60, s61                                    // 00000000D604: 923D3D3C
	s_add_u32 s82, s82, s61                                    // 00000000D608: 80523D52
	v_mul_lo_u32 v6, v5, s82                                   // 00000000D60C: D2850006 0000A505
	v_readlane_b32 s82, v3, 7                                  // 00000000D614: D2890052 00010F03
	s_lshr_b32 s61, s82, 24                                    // 00000000D61C: 8F3D9852
	s_and_b32 s82, s82, 0xffffff                               // 00000000D620: 8652FF52 00FFFFFF
	s_mul_i32 s82, s82, s71                                    // 00000000D628: 92524752
	s_mul_i32 s61, s60, s61                                    // 00000000D62C: 923D3D3C
	s_add_u32 s82, s82, s61                                    // 00000000D630: 80523D52
	v_mul_lo_u32 v7, v4, s82                                   // 00000000D634: D2850007 0000A504
	v_add_u32_e32 v49, v6, v7                                  // 00000000D63C: 68620F06
	v_readlane_b32 s82, v3, 8                                  // 00000000D640: D2890052 00011103
	s_lshr_b32 s61, s82, 24                                    // 00000000D648: 8F3D9852
	s_and_b32 s82, s82, 0xffffff                               // 00000000D64C: 8652FF52 00FFFFFF
	s_mul_i32 s82, s82, s71                                    // 00000000D654: 92524752
	s_mul_i32 s61, s60, s61                                    // 00000000D658: 923D3D3C
	s_add_u32 s82, s82, s61                                    // 00000000D65C: 80523D52
	v_mul_lo_u32 v6, v5, s82                                   // 00000000D660: D2850006 0000A505
	v_readlane_b32 s82, v3, 9                                  // 00000000D668: D2890052 00011303
	s_lshr_b32 s61, s82, 24                                    // 00000000D670: 8F3D9852
	s_and_b32 s82, s82, 0xffffff                               // 00000000D674: 8652FF52 00FFFFFF
	s_mul_i32 s82, s82, s71                                    // 00000000D67C: 92524752
	s_mul_i32 s61, s60, s61                                    // 00000000D680: 923D3D3C
	s_add_u32 s82, s82, s61                                    // 00000000D684: 80523D52
	v_mul_lo_u32 v7, v4, s82                                   // 00000000D688: D2850007 0000A504
	v_add_u32_e32 v50, v6, v7                                  // 00000000D690: 68640F06
	v_readlane_b32 s82, v3, 10                                 // 00000000D694: D2890052 00011503
	s_lshr_b32 s61, s82, 24                                    // 00000000D69C: 8F3D9852
	s_and_b32 s82, s82, 0xffffff                               // 00000000D6A0: 8652FF52 00FFFFFF
	s_mul_i32 s82, s82, s71                                    // 00000000D6A8: 92524752
	s_mul_i32 s61, s60, s61                                    // 00000000D6AC: 923D3D3C
	s_add_u32 s82, s82, s61                                    // 00000000D6B0: 80523D52
	v_mul_lo_u32 v6, v5, s82                                   // 00000000D6B4: D2850006 0000A505
	v_readlane_b32 s82, v3, 11                                 // 00000000D6BC: D2890052 00011703
	s_lshr_b32 s61, s82, 24                                    // 00000000D6C4: 8F3D9852
	s_and_b32 s82, s82, 0xffffff                               // 00000000D6C8: 8652FF52 00FFFFFF
	s_mul_i32 s82, s82, s71                                    // 00000000D6D0: 92524752
	s_mul_i32 s61, s60, s61                                    // 00000000D6D4: 923D3D3C
	s_add_u32 s82, s82, s61                                    // 00000000D6D8: 80523D52
	v_mul_lo_u32 v7, v4, s82                                   // 00000000D6DC: D2850007 0000A504
	v_add_u32_e32 v51, v6, v7                                  // 00000000D6E4: 68660F06
	v_readlane_b32 s82, v3, 12                                 // 00000000D6E8: D2890052 00011903
	s_lshr_b32 s61, s82, 24                                    // 00000000D6F0: 8F3D9852
	s_and_b32 s82, s82, 0xffffff                               // 00000000D6F4: 8652FF52 00FFFFFF
	s_mul_i32 s82, s82, s71                                    // 00000000D6FC: 92524752
	s_mul_i32 s61, s60, s61                                    // 00000000D700: 923D3D3C
	s_add_u32 s82, s82, s61                                    // 00000000D704: 80523D52
	v_mul_lo_u32 v6, v5, s82                                   // 00000000D708: D2850006 0000A505
	v_readlane_b32 s82, v3, 13                                 // 00000000D710: D2890052 00011B03
	s_lshr_b32 s61, s82, 24                                    // 00000000D718: 8F3D9852
	s_and_b32 s82, s82, 0xffffff                               // 00000000D71C: 8652FF52 00FFFFFF
	s_mul_i32 s82, s82, s71                                    // 00000000D724: 92524752
	s_mul_i32 s61, s60, s61                                    // 00000000D728: 923D3D3C
	s_add_u32 s82, s82, s61                                    // 00000000D72C: 80523D52
	v_mul_lo_u32 v7, v4, s82                                   // 00000000D730: D2850007 0000A504
	v_add_u32_e32 v52, v6, v7                                  // 00000000D738: 68680F06
	v_readlane_b32 s82, v3, 14                                 // 00000000D73C: D2890052 00011D03
	s_lshr_b32 s61, s82, 24                                    // 00000000D744: 8F3D9852
	s_and_b32 s82, s82, 0xffffff                               // 00000000D748: 8652FF52 00FFFFFF
	s_mul_i32 s82, s82, s71                                    // 00000000D750: 92524752
	s_mul_i32 s61, s60, s61                                    // 00000000D754: 923D3D3C
	s_add_u32 s82, s82, s61                                    // 00000000D758: 80523D52
	v_mul_lo_u32 v6, v5, s82                                   // 00000000D75C: D2850006 0000A505
	v_readlane_b32 s82, v3, 15                                 // 00000000D764: D2890052 00011F03
	s_lshr_b32 s61, s82, 24                                    // 00000000D76C: 8F3D9852
	s_and_b32 s82, s82, 0xffffff                               // 00000000D770: 8652FF52 00FFFFFF
	s_mul_i32 s82, s82, s71                                    // 00000000D778: 92524752
	s_mul_i32 s61, s60, s61                                    // 00000000D77C: 923D3D3C
	s_add_u32 s82, s82, s61                                    // 00000000D780: 80523D52
	v_mul_lo_u32 v7, v4, s82                                   // 00000000D784: D2850007 0000A504
	v_add_u32_e32 v53, v6, v7                                  // 00000000D78C: 686A0F06
	v_and_b32_e32 v4, 31, v0                                   // 00000000D790: 2608009F
	v_lshrrev_b32_e32 v4, 1, v4                                // 00000000D794: 20080881
	s_cmp_eq_u32 s88, 0                                        // 00000000D798: BF068058
	s_cselect_b32 s61, 2, 4                                    // 00000000D79C: 853D8482
	v_mul_lo_u32 v4, v4, s61                                   // 00000000D7A0: D2850004 00007B04
	v_and_b32_e64 v5, v0, 1                                    // 00000000D7A8: D1130005 00010300
	v_add_u32_e32 v4, v4, v5                                   // 00000000D7B0: 68080B04
	v_lshlrev_b32_e32 v4, 2, v4                                // 00000000D7B4: 24080882
	v_add_u32_e32 v46, v46, v4                                 // 00000000D7B8: 685C092E
	v_add_u32_e32 v47, v47, v4                                 // 00000000D7BC: 685E092F
	v_add_u32_e32 v48, v48, v4                                 // 00000000D7C0: 68600930
	v_add_u32_e32 v49, v49, v4                                 // 00000000D7C4: 68620931
	v_add_u32_e32 v50, v50, v4                                 // 00000000D7C8: 68640932
	v_add_u32_e32 v51, v51, v4                                 // 00000000D7CC: 68660933
	v_add_u32_e32 v52, v52, v4                                 // 00000000D7D0: 68680934
	v_add_u32_e32 v53, v53, v4                                 // 00000000D7D4: 686A0935
	s_waitcnt lgkmcnt(0)                                       // 00000000D7D8: BF8CC07F
	s_barrier                                                  // 00000000D7DC: BF8A0000
	ds_read_b32 v60, v21                                       // 00000000D7E0: D86C0000 3C000015
	ds_read_b32 v61, v21 offset:64                             // 00000000D7E8: D86C0040 3D000015
	ds_read_b32 v62, v21 offset:2176                           // 00000000D7F0: D86C0880 3E000015
	ds_read_b32 v63, v21 offset:2240                           // 00000000D7F8: D86C08C0 3F000015
	ds_read_b32 v64, v21 offset:4352                           // 00000000D800: D86C1100 40000015
	ds_read_b32 v65, v21 offset:4416                           // 00000000D808: D86C1140 41000015
	ds_read_b32 v66, v21 offset:6528                           // 00000000D810: D86C1980 42000015
	ds_read_b32 v67, v21 offset:6592                           // 00000000D818: D86C19C0 43000015
	ds_read_b32 v68, v21 offset:8704                           // 00000000D820: D86C2200 44000015
	ds_read_b32 v69, v21 offset:8768                           // 00000000D828: D86C2240 45000015
	ds_read_b32 v70, v21 offset:10880                          // 00000000D830: D86C2A80 46000015
	ds_read_b32 v71, v21 offset:10944                          // 00000000D838: D86C2AC0 47000015
	ds_read_b32 v72, v21 offset:13056                          // 00000000D840: D86C3300 48000015
	ds_read_b32 v73, v21 offset:13120                          // 00000000D848: D86C3340 49000015
	ds_read_b32 v74, v21 offset:15232                          // 00000000D850: D86C3B80 4A000015
	ds_read_b32 v75, v21 offset:15296                          // 00000000D858: D86C3BC0 4B000015
	ds_read_b32 v76, v21 offset:17408                          // 00000000D860: D86C4400 4C000015
	ds_read_b32 v77, v21 offset:17472                          // 00000000D868: D86C4440 4D000015
	ds_read_b32 v78, v21 offset:19584                          // 00000000D870: D86C4C80 4E000015
	ds_read_b32 v79, v21 offset:19648                          // 00000000D878: D86C4CC0 4F000015
	ds_read_b32 v80, v21 offset:21760                          // 00000000D880: D86C5500 50000015
	ds_read_b32 v81, v21 offset:21824                          // 00000000D888: D86C5540 51000015
	ds_read_b32 v82, v21 offset:23936                          // 00000000D890: D86C5D80 52000015
	ds_read_b32 v83, v21 offset:24000                          // 00000000D898: D86C5DC0 53000015
	ds_read_b32 v84, v21 offset:26112                          // 00000000D8A0: D86C6600 54000015
	ds_read_b32 v85, v21 offset:26176                          // 00000000D8A8: D86C6640 55000015
	ds_read_b32 v86, v21 offset:28288                          // 00000000D8B0: D86C6E80 56000015
	ds_read_b32 v87, v21 offset:28352                          // 00000000D8B8: D86C6EC0 57000015
	ds_read_b32 v88, v21 offset:30464                          // 00000000D8C0: D86C7700 58000015
	ds_read_b32 v89, v21 offset:30528                          // 00000000D8C8: D86C7740 59000015
	ds_read_b32 v90, v21 offset:32640                          // 00000000D8D0: D86C7F80 5A000015
	ds_read_b32 v91, v21 offset:32704                          // 00000000D8D8: D86C7FC0 5B000015
	s_waitcnt lgkmcnt(0)                                       // 00000000D8E0: BF8CC07F
	s_mov_b32 s36, -1                                          // 00000000D8E4: BEA400C1
	s_mov_b32 s37, -1                                          // 00000000D8E8: BEA500C1
	v_mov_b32_e32 v7, 0                                        // 00000000D8EC: 7E0E0280
	s_or_b32 s9, s9, 0x40000                                   // 00000000D8F0: 8709FF09 00040000
	s_mov_b64 exec, s[36:37]                                   // 00000000D8F8: BEFE0124
	v_mov_b32_e32 v6, v46                                      // 00000000D8FC: 7E0C032E
	s_mov_b64 s[60:61], 0                                      // 00000000D900: BEBC0180
	v_readlane_b32 s82, v3, 0                                  // 00000000D904: D2890052 00010103
	s_and_b32 s82, s82, 0xffffff                               // 00000000D90C: 8652FF52 00FFFFFF
	s_cmp_lt_u32 s82, s66                                      // 00000000D914: BF0A4252
	s_cselect_b32 s20, s36, s60                                // 00000000D918: 85143C24
	v_readlane_b32 s82, v3, 1                                  // 00000000D91C: D2890052 00010303
	s_and_b32 s82, s82, 0xffffff                               // 00000000D924: 8652FF52 00FFFFFF
	s_cmp_lt_u32 s82, s66                                      // 00000000D92C: BF0A4252
	s_cselect_b32 s21, s36, s60                                // 00000000D930: 85153C24
	s_mov_b64 exec, s[20:21]                                   // 00000000D934: BEFE0114
	buffer_store_dword v60, v6, s[8:11], 0 offen               // 00000000D938: E0701000 80023C06
	buffer_store_dword v62, v6, s[8:11], 0 offen offset:128    // 00000000D940: E0701080 80023E06
	buffer_store_dword v64, v6, s[8:11], 0 offen offset:256    // 00000000D948: E0701100 80024006
	buffer_store_dword v66, v6, s[8:11], 0 offen offset:384    // 00000000D950: E0701180 80024206
	s_mov_b64 exec, s[36:37]                                   // 00000000D958: BEFE0124
	v_mov_b32_e32 v6, v47                                      // 00000000D95C: 7E0C032F
	s_mov_b64 s[60:61], 0                                      // 00000000D960: BEBC0180
	v_readlane_b32 s82, v3, 2                                  // 00000000D964: D2890052 00010503
	s_and_b32 s82, s82, 0xffffff                               // 00000000D96C: 8652FF52 00FFFFFF
	s_cmp_lt_u32 s82, s66                                      // 00000000D974: BF0A4252
	s_cselect_b32 s20, s36, s60                                // 00000000D978: 85143C24
	v_readlane_b32 s82, v3, 3                                  // 00000000D97C: D2890052 00010703
	s_and_b32 s82, s82, 0xffffff                               // 00000000D984: 8652FF52 00FFFFFF
	s_cmp_lt_u32 s82, s66                                      // 00000000D98C: BF0A4252
	s_cselect_b32 s21, s36, s60                                // 00000000D990: 85153C24
	s_mov_b64 exec, s[20:21]                                   // 00000000D994: BEFE0114
	buffer_store_dword v61, v6, s[8:11], 0 offen               // 00000000D998: E0701000 80023D06
	buffer_store_dword v63, v6, s[8:11], 0 offen offset:128    // 00000000D9A0: E0701080 80023F06
	buffer_store_dword v65, v6, s[8:11], 0 offen offset:256    // 00000000D9A8: E0701100 80024106
	buffer_store_dword v67, v6, s[8:11], 0 offen offset:384    // 00000000D9B0: E0701180 80024306
	s_mov_b64 exec, s[36:37]                                   // 00000000D9B8: BEFE0124
	v_mov_b32_e32 v6, v48                                      // 00000000D9BC: 7E0C0330
	s_mov_b64 s[60:61], 0                                      // 00000000D9C0: BEBC0180
	v_readlane_b32 s82, v3, 4                                  // 00000000D9C4: D2890052 00010903
	s_and_b32 s82, s82, 0xffffff                               // 00000000D9CC: 8652FF52 00FFFFFF
	s_cmp_lt_u32 s82, s66                                      // 00000000D9D4: BF0A4252
	s_cselect_b32 s20, s36, s60                                // 00000000D9D8: 85143C24
	v_readlane_b32 s82, v3, 5                                  // 00000000D9DC: D2890052 00010B03
	s_and_b32 s82, s82, 0xffffff                               // 00000000D9E4: 8652FF52 00FFFFFF
	s_cmp_lt_u32 s82, s66                                      // 00000000D9EC: BF0A4252
	s_cselect_b32 s21, s36, s60                                // 00000000D9F0: 85153C24
	s_mov_b64 exec, s[20:21]                                   // 00000000D9F4: BEFE0114
	buffer_store_dword v68, v6, s[8:11], 0 offen               // 00000000D9F8: E0701000 80024406
	buffer_store_dword v70, v6, s[8:11], 0 offen offset:128    // 00000000DA00: E0701080 80024606
	buffer_store_dword v72, v6, s[8:11], 0 offen offset:256    // 00000000DA08: E0701100 80024806
	buffer_store_dword v74, v6, s[8:11], 0 offen offset:384    // 00000000DA10: E0701180 80024A06
	s_mov_b64 exec, s[36:37]                                   // 00000000DA18: BEFE0124
	v_mov_b32_e32 v6, v49                                      // 00000000DA1C: 7E0C0331
	s_mov_b64 s[60:61], 0                                      // 00000000DA20: BEBC0180
	v_readlane_b32 s82, v3, 6                                  // 00000000DA24: D2890052 00010D03
	s_and_b32 s82, s82, 0xffffff                               // 00000000DA2C: 8652FF52 00FFFFFF
	s_cmp_lt_u32 s82, s66                                      // 00000000DA34: BF0A4252
	s_cselect_b32 s20, s36, s60                                // 00000000DA38: 85143C24
	v_readlane_b32 s82, v3, 7                                  // 00000000DA3C: D2890052 00010F03
	s_and_b32 s82, s82, 0xffffff                               // 00000000DA44: 8652FF52 00FFFFFF
	s_cmp_lt_u32 s82, s66                                      // 00000000DA4C: BF0A4252
	s_cselect_b32 s21, s36, s60                                // 00000000DA50: 85153C24
	s_mov_b64 exec, s[20:21]                                   // 00000000DA54: BEFE0114
	buffer_store_dword v69, v6, s[8:11], 0 offen               // 00000000DA58: E0701000 80024506
	buffer_store_dword v71, v6, s[8:11], 0 offen offset:128    // 00000000DA60: E0701080 80024706
	buffer_store_dword v73, v6, s[8:11], 0 offen offset:256    // 00000000DA68: E0701100 80024906
	buffer_store_dword v75, v6, s[8:11], 0 offen offset:384    // 00000000DA70: E0701180 80024B06
	s_mov_b64 exec, s[36:37]                                   // 00000000DA78: BEFE0124
	v_mov_b32_e32 v6, v50                                      // 00000000DA7C: 7E0C0332
	s_mov_b64 s[60:61], 0                                      // 00000000DA80: BEBC0180
	v_readlane_b32 s82, v3, 8                                  // 00000000DA84: D2890052 00011103
	s_and_b32 s82, s82, 0xffffff                               // 00000000DA8C: 8652FF52 00FFFFFF
	s_cmp_lt_u32 s82, s66                                      // 00000000DA94: BF0A4252
	s_cselect_b32 s20, s36, s60                                // 00000000DA98: 85143C24
	v_readlane_b32 s82, v3, 9                                  // 00000000DA9C: D2890052 00011303
	s_and_b32 s82, s82, 0xffffff                               // 00000000DAA4: 8652FF52 00FFFFFF
	s_cmp_lt_u32 s82, s66                                      // 00000000DAAC: BF0A4252
	s_cselect_b32 s21, s36, s60                                // 00000000DAB0: 85153C24
	s_mov_b64 exec, s[20:21]                                   // 00000000DAB4: BEFE0114
	buffer_store_dword v76, v6, s[8:11], 0 offen               // 00000000DAB8: E0701000 80024C06
	buffer_store_dword v78, v6, s[8:11], 0 offen offset:128    // 00000000DAC0: E0701080 80024E06
	buffer_store_dword v80, v6, s[8:11], 0 offen offset:256    // 00000000DAC8: E0701100 80025006
	buffer_store_dword v82, v6, s[8:11], 0 offen offset:384    // 00000000DAD0: E0701180 80025206
	s_mov_b64 exec, s[36:37]                                   // 00000000DAD8: BEFE0124
	v_mov_b32_e32 v6, v51                                      // 00000000DADC: 7E0C0333
	s_mov_b64 s[60:61], 0                                      // 00000000DAE0: BEBC0180
	v_readlane_b32 s82, v3, 10                                 // 00000000DAE4: D2890052 00011503
	s_and_b32 s82, s82, 0xffffff                               // 00000000DAEC: 8652FF52 00FFFFFF
	s_cmp_lt_u32 s82, s66                                      // 00000000DAF4: BF0A4252
	s_cselect_b32 s20, s36, s60                                // 00000000DAF8: 85143C24
	v_readlane_b32 s82, v3, 11                                 // 00000000DAFC: D2890052 00011703
	s_and_b32 s82, s82, 0xffffff                               // 00000000DB04: 8652FF52 00FFFFFF
	s_cmp_lt_u32 s82, s66                                      // 00000000DB0C: BF0A4252
	s_cselect_b32 s21, s36, s60                                // 00000000DB10: 85153C24
	s_mov_b64 exec, s[20:21]                                   // 00000000DB14: BEFE0114
	buffer_store_dword v77, v6, s[8:11], 0 offen               // 00000000DB18: E0701000 80024D06
	buffer_store_dword v79, v6, s[8:11], 0 offen offset:128    // 00000000DB20: E0701080 80024F06
	buffer_store_dword v81, v6, s[8:11], 0 offen offset:256    // 00000000DB28: E0701100 80025106
	buffer_store_dword v83, v6, s[8:11], 0 offen offset:384    // 00000000DB30: E0701180 80025306
	s_mov_b64 exec, s[36:37]                                   // 00000000DB38: BEFE0124
	v_mov_b32_e32 v6, v52                                      // 00000000DB3C: 7E0C0334
	s_mov_b64 s[60:61], 0                                      // 00000000DB40: BEBC0180
	v_readlane_b32 s82, v3, 12                                 // 00000000DB44: D2890052 00011903
	s_and_b32 s82, s82, 0xffffff                               // 00000000DB4C: 8652FF52 00FFFFFF
	s_cmp_lt_u32 s82, s66                                      // 00000000DB54: BF0A4252
	s_cselect_b32 s20, s36, s60                                // 00000000DB58: 85143C24
	v_readlane_b32 s82, v3, 13                                 // 00000000DB5C: D2890052 00011B03
	s_and_b32 s82, s82, 0xffffff                               // 00000000DB64: 8652FF52 00FFFFFF
	s_cmp_lt_u32 s82, s66                                      // 00000000DB6C: BF0A4252
	s_cselect_b32 s21, s36, s60                                // 00000000DB70: 85153C24
	s_mov_b64 exec, s[20:21]                                   // 00000000DB74: BEFE0114
	buffer_store_dword v84, v6, s[8:11], 0 offen               // 00000000DB78: E0701000 80025406
	buffer_store_dword v86, v6, s[8:11], 0 offen offset:128    // 00000000DB80: E0701080 80025606
	buffer_store_dword v88, v6, s[8:11], 0 offen offset:256    // 00000000DB88: E0701100 80025806
	buffer_store_dword v90, v6, s[8:11], 0 offen offset:384    // 00000000DB90: E0701180 80025A06
	s_mov_b64 exec, s[36:37]                                   // 00000000DB98: BEFE0124
	v_mov_b32_e32 v6, v53                                      // 00000000DB9C: 7E0C0335
	s_mov_b64 s[60:61], 0                                      // 00000000DBA0: BEBC0180
	v_readlane_b32 s82, v3, 14                                 // 00000000DBA4: D2890052 00011D03
	s_and_b32 s82, s82, 0xffffff                               // 00000000DBAC: 8652FF52 00FFFFFF
	s_cmp_lt_u32 s82, s66                                      // 00000000DBB4: BF0A4252
	s_cselect_b32 s20, s36, s60                                // 00000000DBB8: 85143C24
	v_readlane_b32 s82, v3, 15                                 // 00000000DBBC: D2890052 00011F03
	s_and_b32 s82, s82, 0xffffff                               // 00000000DBC4: 8652FF52 00FFFFFF
	s_cmp_lt_u32 s82, s66                                      // 00000000DBCC: BF0A4252
	s_cselect_b32 s21, s36, s60                                // 00000000DBD0: 85153C24
	s_mov_b64 exec, s[20:21]                                   // 00000000DBD4: BEFE0114
	buffer_store_dword v85, v6, s[8:11], 0 offen               // 00000000DBD8: E0701000 80025506
	buffer_store_dword v87, v6, s[8:11], 0 offen offset:128    // 00000000DBE0: E0701080 80025706
	buffer_store_dword v89, v6, s[8:11], 0 offen offset:256    // 00000000DBE8: E0701100 80025906
	buffer_store_dword v91, v6, s[8:11], 0 offen offset:384    // 00000000DBF0: E0701180 80025B06
	s_mov_b64 exec, s[36:37]                                   // 00000000DBF8: BEFE0124
	s_branch label_31DD                                        // 00000000DBFC: BF82055A

000000000000dc00 <label_2C83>:
	ds_write_b64 v20, v[60:61]                                 // 00000000DC00: D89A0000 00003C14
	ds_write_b64 v20, v[64:65] offset:8704                     // 00000000DC08: D89A2200 00004014
	ds_write_b64 v20, v[68:69] offset:17408                    // 00000000DC10: D89A4400 00004414
	ds_write_b64 v20, v[72:73] offset:26112                    // 00000000DC18: D89A6600 00004814
	ds_write_b64 v20, v[76:77] offset:2176                     // 00000000DC20: D89A0880 00004C14
	ds_write_b64 v20, v[80:81] offset:10880                    // 00000000DC28: D89A2A80 00005014
	ds_write_b64 v20, v[84:85] offset:19584                    // 00000000DC30: D89A4C80 00005414
	ds_write_b64 v20, v[88:89] offset:28288                    // 00000000DC38: D89A6E80 00005814
	ds_write_b64 v20, v[92:93] offset:4352                     // 00000000DC40: D89A1100 00005C14
	ds_write_b64 v20, v[96:97] offset:13056                    // 00000000DC48: D89A3300 00006014
	ds_write_b64 v20, v[100:101] offset:21760                  // 00000000DC50: D89A5500 00006414
	ds_write_b64 v20, v[104:105] offset:30464                  // 00000000DC58: D89A7700 00006814
	ds_write_b64 v20, v[108:109] offset:6528                   // 00000000DC60: D89A1980 00006C14
	ds_write_b64 v20, v[112:113] offset:15232                  // 00000000DC68: D89A3B80 00007014
	ds_write_b64 v20, v[116:117] offset:23936                  // 00000000DC70: D89A5D80 00007414
	ds_write_b64 v20, v[120:121] offset:32640                  // 00000000DC78: D89A7F80 00007814
	v_lshrrev_b32_e32 v4, 5, v0                                // 00000000DC80: 20080085
	v_xor_b32_e32 v5, 1, v4                                    // 00000000DC84: 2A0A0881
	s_mul_i32 s60, s65, 2                                      // 00000000DC88: 923C8241
	s_cmp_eq_u32 s88, 0                                        // 00000000DC8C: BF068058
	s_cselect_b32 s61, 1, 4                                    // 00000000DC90: 853D8481
	s_mul_i32 s60, s61, s60                                    // 00000000DC94: 923C3C3D
	v_readlane_b32 s82, v3, 0                                  // 00000000DC98: D2890052 00010103
	s_lshr_b32 s61, s82, 24                                    // 00000000DCA0: 8F3D9852
	s_and_b32 s82, s82, 0xffffff                               // 00000000DCA4: 8652FF52 00FFFFFF
	s_mul_i32 s82, s82, s71                                    // 00000000DCAC: 92524752
	s_mul_i32 s61, s60, s61                                    // 00000000DCB0: 923D3D3C
	s_add_u32 s82, s82, s61                                    // 00000000DCB4: 80523D52
	v_mul_lo_u32 v6, v5, s82                                   // 00000000DCB8: D2850006 0000A505
	v_readlane_b32 s82, v3, 1                                  // 00000000DCC0: D2890052 00010303
	s_lshr_b32 s61, s82, 24                                    // 00000000DCC8: 8F3D9852
	s_and_b32 s82, s82, 0xffffff                               // 00000000DCCC: 8652FF52 00FFFFFF
	s_mul_i32 s82, s82, s71                                    // 00000000DCD4: 92524752
	s_mul_i32 s61, s60, s61                                    // 00000000DCD8: 923D3D3C
	s_add_u32 s82, s82, s61                                    // 00000000DCDC: 80523D52
	v_mul_lo_u32 v7, v4, s82                                   // 00000000DCE0: D2850007 0000A504
	v_add_u32_e32 v46, v6, v7                                  // 00000000DCE8: 685C0F06
	v_readlane_b32 s82, v3, 2                                  // 00000000DCEC: D2890052 00010503
	s_lshr_b32 s61, s82, 24                                    // 00000000DCF4: 8F3D9852
	s_and_b32 s82, s82, 0xffffff                               // 00000000DCF8: 8652FF52 00FFFFFF
	s_mul_i32 s82, s82, s71                                    // 00000000DD00: 92524752
	s_mul_i32 s61, s60, s61                                    // 00000000DD04: 923D3D3C
	s_add_u32 s82, s82, s61                                    // 00000000DD08: 80523D52
	v_mul_lo_u32 v6, v5, s82                                   // 00000000DD0C: D2850006 0000A505
	v_readlane_b32 s82, v3, 3                                  // 00000000DD14: D2890052 00010703
	s_lshr_b32 s61, s82, 24                                    // 00000000DD1C: 8F3D9852
	s_and_b32 s82, s82, 0xffffff                               // 00000000DD20: 8652FF52 00FFFFFF
	s_mul_i32 s82, s82, s71                                    // 00000000DD28: 92524752
	s_mul_i32 s61, s60, s61                                    // 00000000DD2C: 923D3D3C
	s_add_u32 s82, s82, s61                                    // 00000000DD30: 80523D52
	v_mul_lo_u32 v7, v4, s82                                   // 00000000DD34: D2850007 0000A504
	v_add_u32_e32 v47, v6, v7                                  // 00000000DD3C: 685E0F06
	v_readlane_b32 s82, v3, 4                                  // 00000000DD40: D2890052 00010903
	s_lshr_b32 s61, s82, 24                                    // 00000000DD48: 8F3D9852
	s_and_b32 s82, s82, 0xffffff                               // 00000000DD4C: 8652FF52 00FFFFFF
	s_mul_i32 s82, s82, s71                                    // 00000000DD54: 92524752
	s_mul_i32 s61, s60, s61                                    // 00000000DD58: 923D3D3C
	s_add_u32 s82, s82, s61                                    // 00000000DD5C: 80523D52
	v_mul_lo_u32 v6, v5, s82                                   // 00000000DD60: D2850006 0000A505
	v_readlane_b32 s82, v3, 5                                  // 00000000DD68: D2890052 00010B03
	s_lshr_b32 s61, s82, 24                                    // 00000000DD70: 8F3D9852
	s_and_b32 s82, s82, 0xffffff                               // 00000000DD74: 8652FF52 00FFFFFF
	s_mul_i32 s82, s82, s71                                    // 00000000DD7C: 92524752
	s_mul_i32 s61, s60, s61                                    // 00000000DD80: 923D3D3C
	s_add_u32 s82, s82, s61                                    // 00000000DD84: 80523D52
	v_mul_lo_u32 v7, v4, s82                                   // 00000000DD88: D2850007 0000A504
	v_add_u32_e32 v48, v6, v7                                  // 00000000DD90: 68600F06
	v_readlane_b32 s82, v3, 6                                  // 00000000DD94: D2890052 00010D03
	s_lshr_b32 s61, s82, 24                                    // 00000000DD9C: 8F3D9852
	s_and_b32 s82, s82, 0xffffff                               // 00000000DDA0: 8652FF52 00FFFFFF
	s_mul_i32 s82, s82, s71                                    // 00000000DDA8: 92524752
	s_mul_i32 s61, s60, s61                                    // 00000000DDAC: 923D3D3C
	s_add_u32 s82, s82, s61                                    // 00000000DDB0: 80523D52
	v_mul_lo_u32 v6, v5, s82                                   // 00000000DDB4: D2850006 0000A505
	v_readlane_b32 s82, v3, 7                                  // 00000000DDBC: D2890052 00010F03
	s_lshr_b32 s61, s82, 24                                    // 00000000DDC4: 8F3D9852
	s_and_b32 s82, s82, 0xffffff                               // 00000000DDC8: 8652FF52 00FFFFFF
	s_mul_i32 s82, s82, s71                                    // 00000000DDD0: 92524752
	s_mul_i32 s61, s60, s61                                    // 00000000DDD4: 923D3D3C
	s_add_u32 s82, s82, s61                                    // 00000000DDD8: 80523D52
	v_mul_lo_u32 v7, v4, s82                                   // 00000000DDDC: D2850007 0000A504
	v_add_u32_e32 v49, v6, v7                                  // 00000000DDE4: 68620F06
	v_readlane_b32 s82, v3, 8                                  // 00000000DDE8: D2890052 00011103
	s_lshr_b32 s61, s82, 24                                    // 00000000DDF0: 8F3D9852
	s_and_b32 s82, s82, 0xffffff                               // 00000000DDF4: 8652FF52 00FFFFFF
	s_mul_i32 s82, s82, s71                                    // 00000000DDFC: 92524752
	s_mul_i32 s61, s60, s61                                    // 00000000DE00: 923D3D3C
	s_add_u32 s82, s82, s61                                    // 00000000DE04: 80523D52
	v_mul_lo_u32 v6, v5, s82                                   // 00000000DE08: D2850006 0000A505
	v_readlane_b32 s82, v3, 9                                  // 00000000DE10: D2890052 00011303
	s_lshr_b32 s61, s82, 24                                    // 00000000DE18: 8F3D9852
	s_and_b32 s82, s82, 0xffffff                               // 00000000DE1C: 8652FF52 00FFFFFF
	s_mul_i32 s82, s82, s71                                    // 00000000DE24: 92524752
	s_mul_i32 s61, s60, s61                                    // 00000000DE28: 923D3D3C
	s_add_u32 s82, s82, s61                                    // 00000000DE2C: 80523D52
	v_mul_lo_u32 v7, v4, s82                                   // 00000000DE30: D2850007 0000A504
	v_add_u32_e32 v50, v6, v7                                  // 00000000DE38: 68640F06
	v_readlane_b32 s82, v3, 10                                 // 00000000DE3C: D2890052 00011503
	s_lshr_b32 s61, s82, 24                                    // 00000000DE44: 8F3D9852
	s_and_b32 s82, s82, 0xffffff                               // 00000000DE48: 8652FF52 00FFFFFF
	s_mul_i32 s82, s82, s71                                    // 00000000DE50: 92524752
	s_mul_i32 s61, s60, s61                                    // 00000000DE54: 923D3D3C
	s_add_u32 s82, s82, s61                                    // 00000000DE58: 80523D52
	v_mul_lo_u32 v6, v5, s82                                   // 00000000DE5C: D2850006 0000A505
	v_readlane_b32 s82, v3, 11                                 // 00000000DE64: D2890052 00011703
	s_lshr_b32 s61, s82, 24                                    // 00000000DE6C: 8F3D9852
	s_and_b32 s82, s82, 0xffffff                               // 00000000DE70: 8652FF52 00FFFFFF
	s_mul_i32 s82, s82, s71                                    // 00000000DE78: 92524752
	s_mul_i32 s61, s60, s61                                    // 00000000DE7C: 923D3D3C
	s_add_u32 s82, s82, s61                                    // 00000000DE80: 80523D52
	v_mul_lo_u32 v7, v4, s82                                   // 00000000DE84: D2850007 0000A504
	v_add_u32_e32 v51, v6, v7                                  // 00000000DE8C: 68660F06
	v_readlane_b32 s82, v3, 12                                 // 00000000DE90: D2890052 00011903
	s_lshr_b32 s61, s82, 24                                    // 00000000DE98: 8F3D9852
	s_and_b32 s82, s82, 0xffffff                               // 00000000DE9C: 8652FF52 00FFFFFF
	s_mul_i32 s82, s82, s71                                    // 00000000DEA4: 92524752
	s_mul_i32 s61, s60, s61                                    // 00000000DEA8: 923D3D3C
	s_add_u32 s82, s82, s61                                    // 00000000DEAC: 80523D52
	v_mul_lo_u32 v6, v5, s82                                   // 00000000DEB0: D2850006 0000A505
	v_readlane_b32 s82, v3, 13                                 // 00000000DEB8: D2890052 00011B03
	s_lshr_b32 s61, s82, 24                                    // 00000000DEC0: 8F3D9852
	s_and_b32 s82, s82, 0xffffff                               // 00000000DEC4: 8652FF52 00FFFFFF
	s_mul_i32 s82, s82, s71                                    // 00000000DECC: 92524752
	s_mul_i32 s61, s60, s61                                    // 00000000DED0: 923D3D3C
	s_add_u32 s82, s82, s61                                    // 00000000DED4: 80523D52
	v_mul_lo_u32 v7, v4, s82                                   // 00000000DED8: D2850007 0000A504
	v_add_u32_e32 v52, v6, v7                                  // 00000000DEE0: 68680F06
	v_readlane_b32 s82, v3, 14                                 // 00000000DEE4: D2890052 00011D03
	s_lshr_b32 s61, s82, 24                                    // 00000000DEEC: 8F3D9852
	s_and_b32 s82, s82, 0xffffff                               // 00000000DEF0: 8652FF52 00FFFFFF
	s_mul_i32 s82, s82, s71                                    // 00000000DEF8: 92524752
	s_mul_i32 s61, s60, s61                                    // 00000000DEFC: 923D3D3C
	s_add_u32 s82, s82, s61                                    // 00000000DF00: 80523D52
	v_mul_lo_u32 v6, v5, s82                                   // 00000000DF04: D2850006 0000A505
	v_readlane_b32 s82, v3, 15                                 // 00000000DF0C: D2890052 00011F03
	s_lshr_b32 s61, s82, 24                                    // 00000000DF14: 8F3D9852
	s_and_b32 s82, s82, 0xffffff                               // 00000000DF18: 8652FF52 00FFFFFF
	s_mul_i32 s82, s82, s71                                    // 00000000DF20: 92524752
	s_mul_i32 s61, s60, s61                                    // 00000000DF24: 923D3D3C
	s_add_u32 s82, s82, s61                                    // 00000000DF28: 80523D52
	v_mul_lo_u32 v7, v4, s82                                   // 00000000DF2C: D2850007 0000A504
	v_add_u32_e32 v53, v6, v7                                  // 00000000DF34: 686A0F06
	v_and_b32_e32 v4, 31, v0                                   // 00000000DF38: 2608009F
	v_lshrrev_b32_e32 v4, 1, v4                                // 00000000DF3C: 20080881
	s_cmp_eq_u32 s88, 0                                        // 00000000DF40: BF068058
	s_cselect_b32 s61, 2, 4                                    // 00000000DF44: 853D8482
	v_mul_lo_u32 v4, v4, s61                                   // 00000000DF48: D2850004 00007B04
	v_and_b32_e64 v5, v0, 1                                    // 00000000DF50: D1130005 00010300
	v_add_u32_e32 v4, v4, v5                                   // 00000000DF58: 68080B04
	v_lshlrev_b32_e32 v4, 2, v4                                // 00000000DF5C: 24080882
	v_add_u32_e32 v46, v46, v4                                 // 00000000DF60: 685C092E
	v_add_u32_e32 v47, v47, v4                                 // 00000000DF64: 685E092F
	v_add_u32_e32 v48, v48, v4                                 // 00000000DF68: 68600930
	v_add_u32_e32 v49, v49, v4                                 // 00000000DF6C: 68620931
	v_add_u32_e32 v50, v50, v4                                 // 00000000DF70: 68640932
	v_add_u32_e32 v51, v51, v4                                 // 00000000DF74: 68660933
	v_add_u32_e32 v52, v52, v4                                 // 00000000DF78: 68680934
	v_add_u32_e32 v53, v53, v4                                 // 00000000DF7C: 686A0935
	s_waitcnt lgkmcnt(0)                                       // 00000000DF80: BF8CC07F
	s_barrier                                                  // 00000000DF84: BF8A0000
	ds_read_b32 v60, v21                                       // 00000000DF88: D86C0000 3C000015
	ds_read_b32 v61, v21 offset:64                             // 00000000DF90: D86C0040 3D000015
	ds_read_b32 v64, v21 offset:2176                           // 00000000DF98: D86C0880 40000015
	ds_read_b32 v65, v21 offset:2240                           // 00000000DFA0: D86C08C0 41000015
	ds_read_b32 v68, v21 offset:4352                           // 00000000DFA8: D86C1100 44000015
	ds_read_b32 v69, v21 offset:4416                           // 00000000DFB0: D86C1140 45000015
	ds_read_b32 v72, v21 offset:6528                           // 00000000DFB8: D86C1980 48000015
	ds_read_b32 v73, v21 offset:6592                           // 00000000DFC0: D86C19C0 49000015
	ds_read_b32 v76, v21 offset:8704                           // 00000000DFC8: D86C2200 4C000015
	ds_read_b32 v77, v21 offset:8768                           // 00000000DFD0: D86C2240 4D000015
	ds_read_b32 v80, v21 offset:10880                          // 00000000DFD8: D86C2A80 50000015
	ds_read_b32 v81, v21 offset:10944                          // 00000000DFE0: D86C2AC0 51000015
	ds_read_b32 v84, v21 offset:13056                          // 00000000DFE8: D86C3300 54000015
	ds_read_b32 v85, v21 offset:13120                          // 00000000DFF0: D86C3340 55000015
	ds_read_b32 v88, v21 offset:15232                          // 00000000DFF8: D86C3B80 58000015
	ds_read_b32 v89, v21 offset:15296                          // 00000000E000: D86C3BC0 59000015
	ds_read_b32 v92, v21 offset:17408                          // 00000000E008: D86C4400 5C000015
	ds_read_b32 v93, v21 offset:17472                          // 00000000E010: D86C4440 5D000015
	ds_read_b32 v96, v21 offset:19584                          // 00000000E018: D86C4C80 60000015
	ds_read_b32 v97, v21 offset:19648                          // 00000000E020: D86C4CC0 61000015
	ds_read_b32 v100, v21 offset:21760                         // 00000000E028: D86C5500 64000015
	ds_read_b32 v101, v21 offset:21824                         // 00000000E030: D86C5540 65000015
	ds_read_b32 v104, v21 offset:23936                         // 00000000E038: D86C5D80 68000015
	ds_read_b32 v105, v21 offset:24000                         // 00000000E040: D86C5DC0 69000015
	ds_read_b32 v108, v21 offset:26112                         // 00000000E048: D86C6600 6C000015
	ds_read_b32 v109, v21 offset:26176                         // 00000000E050: D86C6640 6D000015
	ds_read_b32 v112, v21 offset:28288                         // 00000000E058: D86C6E80 70000015
	ds_read_b32 v113, v21 offset:28352                         // 00000000E060: D86C6EC0 71000015
	ds_read_b32 v116, v21 offset:30464                         // 00000000E068: D86C7700 74000015
	ds_read_b32 v117, v21 offset:30528                         // 00000000E070: D86C7740 75000015
	ds_read_b32 v120, v21 offset:32640                         // 00000000E078: D86C7F80 78000015
	ds_read_b32 v121, v21 offset:32704                         // 00000000E080: D86C7FC0 79000015
	s_waitcnt lgkmcnt(0)                                       // 00000000E088: BF8CC07F
	s_mov_b32 s36, -1                                          // 00000000E08C: BEA400C1
	s_mov_b32 s37, -1                                          // 00000000E090: BEA500C1
	v_mov_b32_e32 v7, 0                                        // 00000000E094: 7E0E0280
	s_mov_b64 exec, s[36:37]                                   // 00000000E098: BEFE0124
	v_mov_b32_e32 v6, v46                                      // 00000000E09C: 7E0C032E
	s_mov_b64 s[60:61], 0                                      // 00000000E0A0: BEBC0180
	v_readlane_b32 s82, v3, 0                                  // 00000000E0A4: D2890052 00010103
	s_and_b32 s82, s82, 0xffffff                               // 00000000E0AC: 8652FF52 00FFFFFF
	s_cmp_lt_u32 s82, s66                                      // 00000000E0B4: BF0A4252
	s_cselect_b32 s20, s36, s60                                // 00000000E0B8: 85143C24
	v_readlane_b32 s82, v3, 1                                  // 00000000E0BC: D2890052 00010303
	s_and_b32 s82, s82, 0xffffff                               // 00000000E0C4: 8652FF52 00FFFFFF
	s_cmp_lt_u32 s82, s66                                      // 00000000E0CC: BF0A4252
	s_cselect_b32 s21, s36, s60                                // 00000000E0D0: 85153C24
	s_mov_b64 exec, s[20:21]                                   // 00000000E0D4: BEFE0114
	global_atomic_add_f32 v6, v60, s[8:9]                      // 00000000E0D8: DD348000 00083C06
	global_atomic_add_f32 v6, v64, s[8:9] offset:256           // 00000000E0E0: DD348100 00084006
	global_atomic_add_f32 v6, v68, s[8:9] offset:512           // 00000000E0E8: DD348200 00084406
	global_atomic_add_f32 v6, v72, s[8:9] offset:768           // 00000000E0F0: DD348300 00084806
	s_mov_b64 exec, s[36:37]                                   // 00000000E0F8: BEFE0124
	v_mov_b32_e32 v6, v47                                      // 00000000E0FC: 7E0C032F
	s_mov_b64 s[60:61], 0                                      // 00000000E100: BEBC0180
	v_readlane_b32 s82, v3, 2                                  // 00000000E104: D2890052 00010503
	s_and_b32 s82, s82, 0xffffff                               // 00000000E10C: 8652FF52 00FFFFFF
	s_cmp_lt_u32 s82, s66                                      // 00000000E114: BF0A4252
	s_cselect_b32 s20, s36, s60                                // 00000000E118: 85143C24
	v_readlane_b32 s82, v3, 3                                  // 00000000E11C: D2890052 00010703
	s_and_b32 s82, s82, 0xffffff                               // 00000000E124: 8652FF52 00FFFFFF
	s_cmp_lt_u32 s82, s66                                      // 00000000E12C: BF0A4252
	s_cselect_b32 s21, s36, s60                                // 00000000E130: 85153C24
	s_mov_b64 exec, s[20:21]                                   // 00000000E134: BEFE0114
	global_atomic_add_f32 v6, v61, s[8:9]                      // 00000000E138: DD348000 00083D06
	global_atomic_add_f32 v6, v65, s[8:9] offset:256           // 00000000E140: DD348100 00084106
	global_atomic_add_f32 v6, v69, s[8:9] offset:512           // 00000000E148: DD348200 00084506
	global_atomic_add_f32 v6, v73, s[8:9] offset:768           // 00000000E150: DD348300 00084906
	s_mov_b64 exec, s[36:37]                                   // 00000000E158: BEFE0124
	v_mov_b32_e32 v6, v48                                      // 00000000E15C: 7E0C0330
	s_mov_b64 s[60:61], 0                                      // 00000000E160: BEBC0180
	v_readlane_b32 s82, v3, 4                                  // 00000000E164: D2890052 00010903
	s_and_b32 s82, s82, 0xffffff                               // 00000000E16C: 8652FF52 00FFFFFF
	s_cmp_lt_u32 s82, s66                                      // 00000000E174: BF0A4252
	s_cselect_b32 s20, s36, s60                                // 00000000E178: 85143C24
	v_readlane_b32 s82, v3, 5                                  // 00000000E17C: D2890052 00010B03
	s_and_b32 s82, s82, 0xffffff                               // 00000000E184: 8652FF52 00FFFFFF
	s_cmp_lt_u32 s82, s66                                      // 00000000E18C: BF0A4252
	s_cselect_b32 s21, s36, s60                                // 00000000E190: 85153C24
	s_mov_b64 exec, s[20:21]                                   // 00000000E194: BEFE0114
	global_atomic_add_f32 v6, v76, s[8:9]                      // 00000000E198: DD348000 00084C06
	global_atomic_add_f32 v6, v80, s[8:9] offset:256           // 00000000E1A0: DD348100 00085006
	global_atomic_add_f32 v6, v84, s[8:9] offset:512           // 00000000E1A8: DD348200 00085406
	global_atomic_add_f32 v6, v88, s[8:9] offset:768           // 00000000E1B0: DD348300 00085806
	s_mov_b64 exec, s[36:37]                                   // 00000000E1B8: BEFE0124
	v_mov_b32_e32 v6, v49                                      // 00000000E1BC: 7E0C0331
	s_mov_b64 s[60:61], 0                                      // 00000000E1C0: BEBC0180
	v_readlane_b32 s82, v3, 6                                  // 00000000E1C4: D2890052 00010D03
	s_and_b32 s82, s82, 0xffffff                               // 00000000E1CC: 8652FF52 00FFFFFF
	s_cmp_lt_u32 s82, s66                                      // 00000000E1D4: BF0A4252
	s_cselect_b32 s20, s36, s60                                // 00000000E1D8: 85143C24
	v_readlane_b32 s82, v3, 7                                  // 00000000E1DC: D2890052 00010F03
	s_and_b32 s82, s82, 0xffffff                               // 00000000E1E4: 8652FF52 00FFFFFF
	s_cmp_lt_u32 s82, s66                                      // 00000000E1EC: BF0A4252
	s_cselect_b32 s21, s36, s60                                // 00000000E1F0: 85153C24
	s_mov_b64 exec, s[20:21]                                   // 00000000E1F4: BEFE0114
	global_atomic_add_f32 v6, v77, s[8:9]                      // 00000000E1F8: DD348000 00084D06
	global_atomic_add_f32 v6, v81, s[8:9] offset:256           // 00000000E200: DD348100 00085106
	global_atomic_add_f32 v6, v85, s[8:9] offset:512           // 00000000E208: DD348200 00085506
	global_atomic_add_f32 v6, v89, s[8:9] offset:768           // 00000000E210: DD348300 00085906
	s_mov_b64 exec, s[36:37]                                   // 00000000E218: BEFE0124
	v_mov_b32_e32 v6, v50                                      // 00000000E21C: 7E0C0332
	s_mov_b64 s[60:61], 0                                      // 00000000E220: BEBC0180
	v_readlane_b32 s82, v3, 8                                  // 00000000E224: D2890052 00011103
	s_and_b32 s82, s82, 0xffffff                               // 00000000E22C: 8652FF52 00FFFFFF
	s_cmp_lt_u32 s82, s66                                      // 00000000E234: BF0A4252
	s_cselect_b32 s20, s36, s60                                // 00000000E238: 85143C24
	v_readlane_b32 s82, v3, 9                                  // 00000000E23C: D2890052 00011303
	s_and_b32 s82, s82, 0xffffff                               // 00000000E244: 8652FF52 00FFFFFF
	s_cmp_lt_u32 s82, s66                                      // 00000000E24C: BF0A4252
	s_cselect_b32 s21, s36, s60                                // 00000000E250: 85153C24
	s_mov_b64 exec, s[20:21]                                   // 00000000E254: BEFE0114
	global_atomic_add_f32 v6, v92, s[8:9]                      // 00000000E258: DD348000 00085C06
	global_atomic_add_f32 v6, v96, s[8:9] offset:256           // 00000000E260: DD348100 00086006
	global_atomic_add_f32 v6, v100, s[8:9] offset:512          // 00000000E268: DD348200 00086406
	global_atomic_add_f32 v6, v104, s[8:9] offset:768          // 00000000E270: DD348300 00086806
	s_mov_b64 exec, s[36:37]                                   // 00000000E278: BEFE0124
	v_mov_b32_e32 v6, v51                                      // 00000000E27C: 7E0C0333
	s_mov_b64 s[60:61], 0                                      // 00000000E280: BEBC0180
	v_readlane_b32 s82, v3, 10                                 // 00000000E284: D2890052 00011503
	s_and_b32 s82, s82, 0xffffff                               // 00000000E28C: 8652FF52 00FFFFFF
	s_cmp_lt_u32 s82, s66                                      // 00000000E294: BF0A4252
	s_cselect_b32 s20, s36, s60                                // 00000000E298: 85143C24
	v_readlane_b32 s82, v3, 11                                 // 00000000E29C: D2890052 00011703
	s_and_b32 s82, s82, 0xffffff                               // 00000000E2A4: 8652FF52 00FFFFFF
	s_cmp_lt_u32 s82, s66                                      // 00000000E2AC: BF0A4252
	s_cselect_b32 s21, s36, s60                                // 00000000E2B0: 85153C24
	s_mov_b64 exec, s[20:21]                                   // 00000000E2B4: BEFE0114
	global_atomic_add_f32 v6, v93, s[8:9]                      // 00000000E2B8: DD348000 00085D06
	global_atomic_add_f32 v6, v97, s[8:9] offset:256           // 00000000E2C0: DD348100 00086106
	global_atomic_add_f32 v6, v101, s[8:9] offset:512          // 00000000E2C8: DD348200 00086506
	global_atomic_add_f32 v6, v105, s[8:9] offset:768          // 00000000E2D0: DD348300 00086906
	s_mov_b64 exec, s[36:37]                                   // 00000000E2D8: BEFE0124
	v_mov_b32_e32 v6, v52                                      // 00000000E2DC: 7E0C0334
	s_mov_b64 s[60:61], 0                                      // 00000000E2E0: BEBC0180
	v_readlane_b32 s82, v3, 12                                 // 00000000E2E4: D2890052 00011903
	s_and_b32 s82, s82, 0xffffff                               // 00000000E2EC: 8652FF52 00FFFFFF
	s_cmp_lt_u32 s82, s66                                      // 00000000E2F4: BF0A4252
	s_cselect_b32 s20, s36, s60                                // 00000000E2F8: 85143C24
	v_readlane_b32 s82, v3, 13                                 // 00000000E2FC: D2890052 00011B03
	s_and_b32 s82, s82, 0xffffff                               // 00000000E304: 8652FF52 00FFFFFF
	s_cmp_lt_u32 s82, s66                                      // 00000000E30C: BF0A4252
	s_cselect_b32 s21, s36, s60                                // 00000000E310: 85153C24
	s_mov_b64 exec, s[20:21]                                   // 00000000E314: BEFE0114
	global_atomic_add_f32 v6, v108, s[8:9]                     // 00000000E318: DD348000 00086C06
	global_atomic_add_f32 v6, v112, s[8:9] offset:256          // 00000000E320: DD348100 00087006
	global_atomic_add_f32 v6, v116, s[8:9] offset:512          // 00000000E328: DD348200 00087406
	global_atomic_add_f32 v6, v120, s[8:9] offset:768          // 00000000E330: DD348300 00087806
	s_mov_b64 exec, s[36:37]                                   // 00000000E338: BEFE0124
	v_mov_b32_e32 v6, v53                                      // 00000000E33C: 7E0C0335
	s_mov_b64 s[60:61], 0                                      // 00000000E340: BEBC0180
	v_readlane_b32 s82, v3, 14                                 // 00000000E344: D2890052 00011D03
	s_and_b32 s82, s82, 0xffffff                               // 00000000E34C: 8652FF52 00FFFFFF
	s_cmp_lt_u32 s82, s66                                      // 00000000E354: BF0A4252
	s_cselect_b32 s20, s36, s60                                // 00000000E358: 85143C24
	v_readlane_b32 s82, v3, 15                                 // 00000000E35C: D2890052 00011F03
	s_and_b32 s82, s82, 0xffffff                               // 00000000E364: 8652FF52 00FFFFFF
	s_cmp_lt_u32 s82, s66                                      // 00000000E36C: BF0A4252
	s_cselect_b32 s21, s36, s60                                // 00000000E370: 85153C24
	s_mov_b64 exec, s[20:21]                                   // 00000000E374: BEFE0114
	global_atomic_add_f32 v6, v109, s[8:9]                     // 00000000E378: DD348000 00086D06
	global_atomic_add_f32 v6, v113, s[8:9] offset:256          // 00000000E380: DD348100 00087106
	global_atomic_add_f32 v6, v117, s[8:9] offset:512          // 00000000E388: DD348200 00087506
	global_atomic_add_f32 v6, v121, s[8:9] offset:768          // 00000000E390: DD348300 00087906
	s_mov_b64 exec, s[36:37]                                   // 00000000E398: BEFE0124
	ds_write_b64 v20, v[62:63]                                 // 00000000E39C: D89A0000 00003E14
	ds_write_b64 v20, v[66:67] offset:8704                     // 00000000E3A4: D89A2200 00004214
	ds_write_b64 v20, v[70:71] offset:17408                    // 00000000E3AC: D89A4400 00004614
	ds_write_b64 v20, v[74:75] offset:26112                    // 00000000E3B4: D89A6600 00004A14
	ds_write_b64 v20, v[78:79] offset:2176                     // 00000000E3BC: D89A0880 00004E14
	ds_write_b64 v20, v[82:83] offset:10880                    // 00000000E3C4: D89A2A80 00005214
	ds_write_b64 v20, v[86:87] offset:19584                    // 00000000E3CC: D89A4C80 00005614
	ds_write_b64 v20, v[90:91] offset:28288                    // 00000000E3D4: D89A6E80 00005A14
	ds_write_b64 v20, v[94:95] offset:4352                     // 00000000E3DC: D89A1100 00005E14
	ds_write_b64 v20, v[98:99] offset:13056                    // 00000000E3E4: D89A3300 00006214
	ds_write_b64 v20, v[102:103] offset:21760                  // 00000000E3EC: D89A5500 00006614
	ds_write_b64 v20, v[106:107] offset:30464                  // 00000000E3F4: D89A7700 00006A14
	ds_write_b64 v20, v[110:111] offset:6528                   // 00000000E3FC: D89A1980 00006E14
	ds_write_b64 v20, v[114:115] offset:15232                  // 00000000E404: D89A3B80 00007214
	ds_write_b64 v20, v[118:119] offset:23936                  // 00000000E40C: D89A5D80 00007614
	ds_write_b64 v20, v[122:123] offset:32640                  // 00000000E414: D89A7F80 00007A14
	s_waitcnt lgkmcnt(0)                                       // 00000000E41C: BF8CC07F
	s_barrier                                                  // 00000000E420: BF8A0000
	ds_read_b32 v62, v21                                       // 00000000E424: D86C0000 3E000015
	ds_read_b32 v63, v21 offset:64                             // 00000000E42C: D86C0040 3F000015
	ds_read_b32 v66, v21 offset:2176                           // 00000000E434: D86C0880 42000015
	ds_read_b32 v67, v21 offset:2240                           // 00000000E43C: D86C08C0 43000015
	ds_read_b32 v70, v21 offset:4352                           // 00000000E444: D86C1100 46000015
	ds_read_b32 v71, v21 offset:4416                           // 00000000E44C: D86C1140 47000015
	ds_read_b32 v74, v21 offset:6528                           // 00000000E454: D86C1980 4A000015
	ds_read_b32 v75, v21 offset:6592                           // 00000000E45C: D86C19C0 4B000015
	ds_read_b32 v78, v21 offset:8704                           // 00000000E464: D86C2200 4E000015
	ds_read_b32 v79, v21 offset:8768                           // 00000000E46C: D86C2240 4F000015
	ds_read_b32 v82, v21 offset:10880                          // 00000000E474: D86C2A80 52000015
	ds_read_b32 v83, v21 offset:10944                          // 00000000E47C: D86C2AC0 53000015
	ds_read_b32 v86, v21 offset:13056                          // 00000000E484: D86C3300 56000015
	ds_read_b32 v87, v21 offset:13120                          // 00000000E48C: D86C3340 57000015
	ds_read_b32 v90, v21 offset:15232                          // 00000000E494: D86C3B80 5A000015
	ds_read_b32 v91, v21 offset:15296                          // 00000000E49C: D86C3BC0 5B000015
	ds_read_b32 v94, v21 offset:17408                          // 00000000E4A4: D86C4400 5E000015
	ds_read_b32 v95, v21 offset:17472                          // 00000000E4AC: D86C4440 5F000015
	ds_read_b32 v98, v21 offset:19584                          // 00000000E4B4: D86C4C80 62000015
	ds_read_b32 v99, v21 offset:19648                          // 00000000E4BC: D86C4CC0 63000015
	ds_read_b32 v102, v21 offset:21760                         // 00000000E4C4: D86C5500 66000015
	ds_read_b32 v103, v21 offset:21824                         // 00000000E4CC: D86C5540 67000015
	ds_read_b32 v106, v21 offset:23936                         // 00000000E4D4: D86C5D80 6A000015
	ds_read_b32 v107, v21 offset:24000                         // 00000000E4DC: D86C5DC0 6B000015
	ds_read_b32 v110, v21 offset:26112                         // 00000000E4E4: D86C6600 6E000015
	ds_read_b32 v111, v21 offset:26176                         // 00000000E4EC: D86C6640 6F000015
	ds_read_b32 v114, v21 offset:28288                         // 00000000E4F4: D86C6E80 72000015
	ds_read_b32 v115, v21 offset:28352                         // 00000000E4FC: D86C6EC0 73000015
	ds_read_b32 v118, v21 offset:30464                         // 00000000E504: D86C7700 76000015
	ds_read_b32 v119, v21 offset:30528                         // 00000000E50C: D86C7740 77000015
	ds_read_b32 v122, v21 offset:32640                         // 00000000E514: D86C7F80 7A000015
	ds_read_b32 v123, v21 offset:32704                         // 00000000E51C: D86C7FC0 7B000015
	s_waitcnt lgkmcnt(0)                                       // 00000000E524: BF8CC07F
	v_mov_b32_e32 v7, 0                                        // 00000000E528: 7E0E0280
	s_mov_b64 exec, s[36:37]                                   // 00000000E52C: BEFE0124
	v_mov_b32_e32 v6, v46                                      // 00000000E530: 7E0C032E
	s_mov_b64 s[60:61], 0                                      // 00000000E534: BEBC0180
	v_readlane_b32 s82, v3, 0                                  // 00000000E538: D2890052 00010103
	s_and_b32 s82, s82, 0xffffff                               // 00000000E540: 8652FF52 00FFFFFF
	s_cmp_lt_u32 s82, s66                                      // 00000000E548: BF0A4252
	s_cselect_b32 s20, s36, s60                                // 00000000E54C: 85143C24
	v_readlane_b32 s82, v3, 1                                  // 00000000E550: D2890052 00010303
	s_and_b32 s82, s82, 0xffffff                               // 00000000E558: 8652FF52 00FFFFFF
	s_cmp_lt_u32 s82, s66                                      // 00000000E560: BF0A4252
	s_cselect_b32 s21, s36, s60                                // 00000000E564: 85153C24
	s_mov_b64 exec, s[20:21]                                   // 00000000E568: BEFE0114
	global_atomic_add_f32 v6, v62, s[8:9] offset:8             // 00000000E56C: DD348008 00083E06
	global_atomic_add_f32 v6, v66, s[8:9] offset:264           // 00000000E574: DD348108 00084206
	global_atomic_add_f32 v6, v70, s[8:9] offset:520           // 00000000E57C: DD348208 00084606
	global_atomic_add_f32 v6, v74, s[8:9] offset:776           // 00000000E584: DD348308 00084A06
	s_mov_b64 exec, s[36:37]                                   // 00000000E58C: BEFE0124
	v_mov_b32_e32 v6, v47                                      // 00000000E590: 7E0C032F
	s_mov_b64 s[60:61], 0                                      // 00000000E594: BEBC0180
	v_readlane_b32 s82, v3, 2                                  // 00000000E598: D2890052 00010503
	s_and_b32 s82, s82, 0xffffff                               // 00000000E5A0: 8652FF52 00FFFFFF
	s_cmp_lt_u32 s82, s66                                      // 00000000E5A8: BF0A4252
	s_cselect_b32 s20, s36, s60                                // 00000000E5AC: 85143C24
	v_readlane_b32 s82, v3, 3                                  // 00000000E5B0: D2890052 00010703
	s_and_b32 s82, s82, 0xffffff                               // 00000000E5B8: 8652FF52 00FFFFFF
	s_cmp_lt_u32 s82, s66                                      // 00000000E5C0: BF0A4252
	s_cselect_b32 s21, s36, s60                                // 00000000E5C4: 85153C24
	s_mov_b64 exec, s[20:21]                                   // 00000000E5C8: BEFE0114
	global_atomic_add_f32 v6, v63, s[8:9] offset:8             // 00000000E5CC: DD348008 00083F06
	global_atomic_add_f32 v6, v67, s[8:9] offset:264           // 00000000E5D4: DD348108 00084306
	global_atomic_add_f32 v6, v71, s[8:9] offset:520           // 00000000E5DC: DD348208 00084706
	global_atomic_add_f32 v6, v75, s[8:9] offset:776           // 00000000E5E4: DD348308 00084B06
	s_mov_b64 exec, s[36:37]                                   // 00000000E5EC: BEFE0124
	v_mov_b32_e32 v6, v48                                      // 00000000E5F0: 7E0C0330
	s_mov_b64 s[60:61], 0                                      // 00000000E5F4: BEBC0180
	v_readlane_b32 s82, v3, 4                                  // 00000000E5F8: D2890052 00010903
	s_and_b32 s82, s82, 0xffffff                               // 00000000E600: 8652FF52 00FFFFFF
	s_cmp_lt_u32 s82, s66                                      // 00000000E608: BF0A4252
	s_cselect_b32 s20, s36, s60                                // 00000000E60C: 85143C24
	v_readlane_b32 s82, v3, 5                                  // 00000000E610: D2890052 00010B03
	s_and_b32 s82, s82, 0xffffff                               // 00000000E618: 8652FF52 00FFFFFF
	s_cmp_lt_u32 s82, s66                                      // 00000000E620: BF0A4252
	s_cselect_b32 s21, s36, s60                                // 00000000E624: 85153C24
	s_mov_b64 exec, s[20:21]                                   // 00000000E628: BEFE0114
	global_atomic_add_f32 v6, v78, s[8:9] offset:8             // 00000000E62C: DD348008 00084E06
	global_atomic_add_f32 v6, v82, s[8:9] offset:264           // 00000000E634: DD348108 00085206
	global_atomic_add_f32 v6, v86, s[8:9] offset:520           // 00000000E63C: DD348208 00085606
	global_atomic_add_f32 v6, v90, s[8:9] offset:776           // 00000000E644: DD348308 00085A06
	s_mov_b64 exec, s[36:37]                                   // 00000000E64C: BEFE0124
	v_mov_b32_e32 v6, v49                                      // 00000000E650: 7E0C0331
	s_mov_b64 s[60:61], 0                                      // 00000000E654: BEBC0180
	v_readlane_b32 s82, v3, 6                                  // 00000000E658: D2890052 00010D03
	s_and_b32 s82, s82, 0xffffff                               // 00000000E660: 8652FF52 00FFFFFF
	s_cmp_lt_u32 s82, s66                                      // 00000000E668: BF0A4252
	s_cselect_b32 s20, s36, s60                                // 00000000E66C: 85143C24
	v_readlane_b32 s82, v3, 7                                  // 00000000E670: D2890052 00010F03
	s_and_b32 s82, s82, 0xffffff                               // 00000000E678: 8652FF52 00FFFFFF
	s_cmp_lt_u32 s82, s66                                      // 00000000E680: BF0A4252
	s_cselect_b32 s21, s36, s60                                // 00000000E684: 85153C24
	s_mov_b64 exec, s[20:21]                                   // 00000000E688: BEFE0114
	global_atomic_add_f32 v6, v79, s[8:9] offset:8             // 00000000E68C: DD348008 00084F06
	global_atomic_add_f32 v6, v83, s[8:9] offset:264           // 00000000E694: DD348108 00085306
	global_atomic_add_f32 v6, v87, s[8:9] offset:520           // 00000000E69C: DD348208 00085706
	global_atomic_add_f32 v6, v91, s[8:9] offset:776           // 00000000E6A4: DD348308 00085B06
	s_mov_b64 exec, s[36:37]                                   // 00000000E6AC: BEFE0124
	v_mov_b32_e32 v6, v50                                      // 00000000E6B0: 7E0C0332
	s_mov_b64 s[60:61], 0                                      // 00000000E6B4: BEBC0180
	v_readlane_b32 s82, v3, 8                                  // 00000000E6B8: D2890052 00011103
	s_and_b32 s82, s82, 0xffffff                               // 00000000E6C0: 8652FF52 00FFFFFF
	s_cmp_lt_u32 s82, s66                                      // 00000000E6C8: BF0A4252
	s_cselect_b32 s20, s36, s60                                // 00000000E6CC: 85143C24
	v_readlane_b32 s82, v3, 9                                  // 00000000E6D0: D2890052 00011303
	s_and_b32 s82, s82, 0xffffff                               // 00000000E6D8: 8652FF52 00FFFFFF
	s_cmp_lt_u32 s82, s66                                      // 00000000E6E0: BF0A4252
	s_cselect_b32 s21, s36, s60                                // 00000000E6E4: 85153C24
	s_mov_b64 exec, s[20:21]                                   // 00000000E6E8: BEFE0114
	global_atomic_add_f32 v6, v94, s[8:9] offset:8             // 00000000E6EC: DD348008 00085E06
	global_atomic_add_f32 v6, v98, s[8:9] offset:264           // 00000000E6F4: DD348108 00086206
	global_atomic_add_f32 v6, v102, s[8:9] offset:520          // 00000000E6FC: DD348208 00086606
	global_atomic_add_f32 v6, v106, s[8:9] offset:776          // 00000000E704: DD348308 00086A06
	s_mov_b64 exec, s[36:37]                                   // 00000000E70C: BEFE0124
	v_mov_b32_e32 v6, v51                                      // 00000000E710: 7E0C0333
	s_mov_b64 s[60:61], 0                                      // 00000000E714: BEBC0180
	v_readlane_b32 s82, v3, 10                                 // 00000000E718: D2890052 00011503
	s_and_b32 s82, s82, 0xffffff                               // 00000000E720: 8652FF52 00FFFFFF
	s_cmp_lt_u32 s82, s66                                      // 00000000E728: BF0A4252
	s_cselect_b32 s20, s36, s60                                // 00000000E72C: 85143C24
	v_readlane_b32 s82, v3, 11                                 // 00000000E730: D2890052 00011703
	s_and_b32 s82, s82, 0xffffff                               // 00000000E738: 8652FF52 00FFFFFF
	s_cmp_lt_u32 s82, s66                                      // 00000000E740: BF0A4252
	s_cselect_b32 s21, s36, s60                                // 00000000E744: 85153C24
	s_mov_b64 exec, s[20:21]                                   // 00000000E748: BEFE0114
	global_atomic_add_f32 v6, v95, s[8:9] offset:8             // 00000000E74C: DD348008 00085F06
	global_atomic_add_f32 v6, v99, s[8:9] offset:264           // 00000000E754: DD348108 00086306
	global_atomic_add_f32 v6, v103, s[8:9] offset:520          // 00000000E75C: DD348208 00086706
	global_atomic_add_f32 v6, v107, s[8:9] offset:776          // 00000000E764: DD348308 00086B06
	s_mov_b64 exec, s[36:37]                                   // 00000000E76C: BEFE0124
	v_mov_b32_e32 v6, v52                                      // 00000000E770: 7E0C0334
	s_mov_b64 s[60:61], 0                                      // 00000000E774: BEBC0180
	v_readlane_b32 s82, v3, 12                                 // 00000000E778: D2890052 00011903
	s_and_b32 s82, s82, 0xffffff                               // 00000000E780: 8652FF52 00FFFFFF
	s_cmp_lt_u32 s82, s66                                      // 00000000E788: BF0A4252
	s_cselect_b32 s20, s36, s60                                // 00000000E78C: 85143C24
	v_readlane_b32 s82, v3, 13                                 // 00000000E790: D2890052 00011B03
	s_and_b32 s82, s82, 0xffffff                               // 00000000E798: 8652FF52 00FFFFFF
	s_cmp_lt_u32 s82, s66                                      // 00000000E7A0: BF0A4252
	s_cselect_b32 s21, s36, s60                                // 00000000E7A4: 85153C24
	s_mov_b64 exec, s[20:21]                                   // 00000000E7A8: BEFE0114
	global_atomic_add_f32 v6, v110, s[8:9] offset:8            // 00000000E7AC: DD348008 00086E06
	global_atomic_add_f32 v6, v114, s[8:9] offset:264          // 00000000E7B4: DD348108 00087206
	global_atomic_add_f32 v6, v118, s[8:9] offset:520          // 00000000E7BC: DD348208 00087606
	global_atomic_add_f32 v6, v122, s[8:9] offset:776          // 00000000E7C4: DD348308 00087A06
	s_mov_b64 exec, s[36:37]                                   // 00000000E7CC: BEFE0124
	v_mov_b32_e32 v6, v53                                      // 00000000E7D0: 7E0C0335
	s_mov_b64 s[60:61], 0                                      // 00000000E7D4: BEBC0180
	v_readlane_b32 s82, v3, 14                                 // 00000000E7D8: D2890052 00011D03
	s_and_b32 s82, s82, 0xffffff                               // 00000000E7E0: 8652FF52 00FFFFFF
	s_cmp_lt_u32 s82, s66                                      // 00000000E7E8: BF0A4252
	s_cselect_b32 s20, s36, s60                                // 00000000E7EC: 85143C24
	v_readlane_b32 s82, v3, 15                                 // 00000000E7F0: D2890052 00011F03
	s_and_b32 s82, s82, 0xffffff                               // 00000000E7F8: 8652FF52 00FFFFFF
	s_cmp_lt_u32 s82, s66                                      // 00000000E800: BF0A4252
	s_cselect_b32 s21, s36, s60                                // 00000000E804: 85153C24
	s_mov_b64 exec, s[20:21]                                   // 00000000E808: BEFE0114
	global_atomic_add_f32 v6, v111, s[8:9] offset:8            // 00000000E80C: DD348008 00086F06
	global_atomic_add_f32 v6, v115, s[8:9] offset:264          // 00000000E814: DD348108 00087306
	global_atomic_add_f32 v6, v119, s[8:9] offset:520          // 00000000E81C: DD348208 00087706
	global_atomic_add_f32 v6, v123, s[8:9] offset:776          // 00000000E824: DD348308 00087B06
	s_mov_b64 exec, s[36:37]                                   // 00000000E82C: BEFE0124
	ds_write_b64 v20, v[124:125]                               // 00000000E830: D89A0000 00007C14
	ds_write_b64 v20, v[128:129] offset:8704                   // 00000000E838: D89A2200 00008014
	ds_write_b64 v20, v[132:133] offset:17408                  // 00000000E840: D89A4400 00008414
	ds_write_b64 v20, v[136:137] offset:26112                  // 00000000E848: D89A6600 00008814
	ds_write_b64 v20, v[140:141] offset:2176                   // 00000000E850: D89A0880 00008C14
	ds_write_b64 v20, v[144:145] offset:10880                  // 00000000E858: D89A2A80 00009014
	ds_write_b64 v20, v[148:149] offset:19584                  // 00000000E860: D89A4C80 00009414
	ds_write_b64 v20, v[152:153] offset:28288                  // 00000000E868: D89A6E80 00009814
	ds_write_b64 v20, v[156:157] offset:4352                   // 00000000E870: D89A1100 00009C14
	ds_write_b64 v20, v[160:161] offset:13056                  // 00000000E878: D89A3300 0000A014
	ds_write_b64 v20, v[164:165] offset:21760                  // 00000000E880: D89A5500 0000A414
	ds_write_b64 v20, v[168:169] offset:30464                  // 00000000E888: D89A7700 0000A814
	ds_write_b64 v20, v[172:173] offset:6528                   // 00000000E890: D89A1980 0000AC14
	ds_write_b64 v20, v[176:177] offset:15232                  // 00000000E898: D89A3B80 0000B014
	ds_write_b64 v20, v[180:181] offset:23936                  // 00000000E8A0: D89A5D80 0000B414
	ds_write_b64 v20, v[184:185] offset:32640                  // 00000000E8A8: D89A7F80 0000B814
	s_waitcnt lgkmcnt(0)                                       // 00000000E8B0: BF8CC07F
	s_barrier                                                  // 00000000E8B4: BF8A0000
	ds_read_b32 v124, v21                                      // 00000000E8B8: D86C0000 7C000015
	ds_read_b32 v125, v21 offset:64                            // 00000000E8C0: D86C0040 7D000015
	ds_read_b32 v128, v21 offset:2176                          // 00000000E8C8: D86C0880 80000015
	ds_read_b32 v129, v21 offset:2240                          // 00000000E8D0: D86C08C0 81000015
	ds_read_b32 v132, v21 offset:4352                          // 00000000E8D8: D86C1100 84000015
	ds_read_b32 v133, v21 offset:4416                          // 00000000E8E0: D86C1140 85000015
	ds_read_b32 v136, v21 offset:6528                          // 00000000E8E8: D86C1980 88000015
	ds_read_b32 v137, v21 offset:6592                          // 00000000E8F0: D86C19C0 89000015
	ds_read_b32 v140, v21 offset:8704                          // 00000000E8F8: D86C2200 8C000015
	ds_read_b32 v141, v21 offset:8768                          // 00000000E900: D86C2240 8D000015
	ds_read_b32 v144, v21 offset:10880                         // 00000000E908: D86C2A80 90000015
	ds_read_b32 v145, v21 offset:10944                         // 00000000E910: D86C2AC0 91000015
	ds_read_b32 v148, v21 offset:13056                         // 00000000E918: D86C3300 94000015
	ds_read_b32 v149, v21 offset:13120                         // 00000000E920: D86C3340 95000015
	ds_read_b32 v152, v21 offset:15232                         // 00000000E928: D86C3B80 98000015
	ds_read_b32 v153, v21 offset:15296                         // 00000000E930: D86C3BC0 99000015
	ds_read_b32 v156, v21 offset:17408                         // 00000000E938: D86C4400 9C000015
	ds_read_b32 v157, v21 offset:17472                         // 00000000E940: D86C4440 9D000015
	ds_read_b32 v160, v21 offset:19584                         // 00000000E948: D86C4C80 A0000015
	ds_read_b32 v161, v21 offset:19648                         // 00000000E950: D86C4CC0 A1000015
	ds_read_b32 v164, v21 offset:21760                         // 00000000E958: D86C5500 A4000015
	ds_read_b32 v165, v21 offset:21824                         // 00000000E960: D86C5540 A5000015
	ds_read_b32 v168, v21 offset:23936                         // 00000000E968: D86C5D80 A8000015
	ds_read_b32 v169, v21 offset:24000                         // 00000000E970: D86C5DC0 A9000015
	ds_read_b32 v172, v21 offset:26112                         // 00000000E978: D86C6600 AC000015
	ds_read_b32 v173, v21 offset:26176                         // 00000000E980: D86C6640 AD000015
	ds_read_b32 v176, v21 offset:28288                         // 00000000E988: D86C6E80 B0000015
	ds_read_b32 v177, v21 offset:28352                         // 00000000E990: D86C6EC0 B1000015
	ds_read_b32 v180, v21 offset:30464                         // 00000000E998: D86C7700 B4000015
	ds_read_b32 v181, v21 offset:30528                         // 00000000E9A0: D86C7740 B5000015
	ds_read_b32 v184, v21 offset:32640                         // 00000000E9A8: D86C7F80 B8000015
	ds_read_b32 v185, v21 offset:32704                         // 00000000E9B0: D86C7FC0 B9000015
	s_mul_i32 s60, s65, 4                                      // 00000000E9B8: 923C8441
	s_add_u32 s8, s60, s8                                      // 00000000E9BC: 8008083C
	s_addc_u32 s9, 0, s9                                       // 00000000E9C0: 82090980
	s_waitcnt lgkmcnt(0)                                       // 00000000E9C4: BF8CC07F
	v_mov_b32_e32 v7, 0                                        // 00000000E9C8: 7E0E0280
	s_mov_b64 exec, s[36:37]                                   // 00000000E9CC: BEFE0124
	v_mov_b32_e32 v6, v46                                      // 00000000E9D0: 7E0C032E
	s_mov_b64 s[60:61], 0                                      // 00000000E9D4: BEBC0180
	v_readlane_b32 s82, v3, 0                                  // 00000000E9D8: D2890052 00010103
	s_and_b32 s82, s82, 0xffffff                               // 00000000E9E0: 8652FF52 00FFFFFF
	s_cmp_lt_u32 s82, s66                                      // 00000000E9E8: BF0A4252
	s_cselect_b32 s20, s36, s60                                // 00000000E9EC: 85143C24
	v_readlane_b32 s82, v3, 1                                  // 00000000E9F0: D2890052 00010303
	s_and_b32 s82, s82, 0xffffff                               // 00000000E9F8: 8652FF52 00FFFFFF
	s_cmp_lt_u32 s82, s66                                      // 00000000EA00: BF0A4252
	s_cselect_b32 s21, s36, s60                                // 00000000EA04: 85153C24
	s_mov_b64 exec, s[20:21]                                   // 00000000EA08: BEFE0114
	global_atomic_add_f32 v6, v124, s[8:9]                     // 00000000EA0C: DD348000 00087C06
	global_atomic_add_f32 v6, v128, s[8:9] offset:256          // 00000000EA14: DD348100 00088006
	global_atomic_add_f32 v6, v132, s[8:9] offset:512          // 00000000EA1C: DD348200 00088406
	global_atomic_add_f32 v6, v136, s[8:9] offset:768          // 00000000EA24: DD348300 00088806
	s_mov_b64 exec, s[36:37]                                   // 00000000EA2C: BEFE0124
	v_mov_b32_e32 v6, v47                                      // 00000000EA30: 7E0C032F
	s_mov_b64 s[60:61], 0                                      // 00000000EA34: BEBC0180
	v_readlane_b32 s82, v3, 2                                  // 00000000EA38: D2890052 00010503
	s_and_b32 s82, s82, 0xffffff                               // 00000000EA40: 8652FF52 00FFFFFF
	s_cmp_lt_u32 s82, s66                                      // 00000000EA48: BF0A4252
	s_cselect_b32 s20, s36, s60                                // 00000000EA4C: 85143C24
	v_readlane_b32 s82, v3, 3                                  // 00000000EA50: D2890052 00010703
	s_and_b32 s82, s82, 0xffffff                               // 00000000EA58: 8652FF52 00FFFFFF
	s_cmp_lt_u32 s82, s66                                      // 00000000EA60: BF0A4252
	s_cselect_b32 s21, s36, s60                                // 00000000EA64: 85153C24
	s_mov_b64 exec, s[20:21]                                   // 00000000EA68: BEFE0114
	global_atomic_add_f32 v6, v125, s[8:9]                     // 00000000EA6C: DD348000 00087D06
	global_atomic_add_f32 v6, v129, s[8:9] offset:256          // 00000000EA74: DD348100 00088106
	global_atomic_add_f32 v6, v133, s[8:9] offset:512          // 00000000EA7C: DD348200 00088506
	global_atomic_add_f32 v6, v137, s[8:9] offset:768          // 00000000EA84: DD348300 00088906
	s_mov_b64 exec, s[36:37]                                   // 00000000EA8C: BEFE0124
	v_mov_b32_e32 v6, v48                                      // 00000000EA90: 7E0C0330
	s_mov_b64 s[60:61], 0                                      // 00000000EA94: BEBC0180
	v_readlane_b32 s82, v3, 4                                  // 00000000EA98: D2890052 00010903
	s_and_b32 s82, s82, 0xffffff                               // 00000000EAA0: 8652FF52 00FFFFFF
	s_cmp_lt_u32 s82, s66                                      // 00000000EAA8: BF0A4252
	s_cselect_b32 s20, s36, s60                                // 00000000EAAC: 85143C24
	v_readlane_b32 s82, v3, 5                                  // 00000000EAB0: D2890052 00010B03
	s_and_b32 s82, s82, 0xffffff                               // 00000000EAB8: 8652FF52 00FFFFFF
	s_cmp_lt_u32 s82, s66                                      // 00000000EAC0: BF0A4252
	s_cselect_b32 s21, s36, s60                                // 00000000EAC4: 85153C24
	s_mov_b64 exec, s[20:21]                                   // 00000000EAC8: BEFE0114
	global_atomic_add_f32 v6, v140, s[8:9]                     // 00000000EACC: DD348000 00088C06
	global_atomic_add_f32 v6, v144, s[8:9] offset:256          // 00000000EAD4: DD348100 00089006
	global_atomic_add_f32 v6, v148, s[8:9] offset:512          // 00000000EADC: DD348200 00089406
	global_atomic_add_f32 v6, v152, s[8:9] offset:768          // 00000000EAE4: DD348300 00089806
	s_mov_b64 exec, s[36:37]                                   // 00000000EAEC: BEFE0124
	v_mov_b32_e32 v6, v49                                      // 00000000EAF0: 7E0C0331
	s_mov_b64 s[60:61], 0                                      // 00000000EAF4: BEBC0180
	v_readlane_b32 s82, v3, 6                                  // 00000000EAF8: D2890052 00010D03
	s_and_b32 s82, s82, 0xffffff                               // 00000000EB00: 8652FF52 00FFFFFF
	s_cmp_lt_u32 s82, s66                                      // 00000000EB08: BF0A4252
	s_cselect_b32 s20, s36, s60                                // 00000000EB0C: 85143C24
	v_readlane_b32 s82, v3, 7                                  // 00000000EB10: D2890052 00010F03
	s_and_b32 s82, s82, 0xffffff                               // 00000000EB18: 8652FF52 00FFFFFF
	s_cmp_lt_u32 s82, s66                                      // 00000000EB20: BF0A4252
	s_cselect_b32 s21, s36, s60                                // 00000000EB24: 85153C24
	s_mov_b64 exec, s[20:21]                                   // 00000000EB28: BEFE0114
	global_atomic_add_f32 v6, v141, s[8:9]                     // 00000000EB2C: DD348000 00088D06
	global_atomic_add_f32 v6, v145, s[8:9] offset:256          // 00000000EB34: DD348100 00089106
	global_atomic_add_f32 v6, v149, s[8:9] offset:512          // 00000000EB3C: DD348200 00089506
	global_atomic_add_f32 v6, v153, s[8:9] offset:768          // 00000000EB44: DD348300 00089906
	s_mov_b64 exec, s[36:37]                                   // 00000000EB4C: BEFE0124
	v_mov_b32_e32 v6, v50                                      // 00000000EB50: 7E0C0332
	s_mov_b64 s[60:61], 0                                      // 00000000EB54: BEBC0180
	v_readlane_b32 s82, v3, 8                                  // 00000000EB58: D2890052 00011103
	s_and_b32 s82, s82, 0xffffff                               // 00000000EB60: 8652FF52 00FFFFFF
	s_cmp_lt_u32 s82, s66                                      // 00000000EB68: BF0A4252
	s_cselect_b32 s20, s36, s60                                // 00000000EB6C: 85143C24
	v_readlane_b32 s82, v3, 9                                  // 00000000EB70: D2890052 00011303
	s_and_b32 s82, s82, 0xffffff                               // 00000000EB78: 8652FF52 00FFFFFF
	s_cmp_lt_u32 s82, s66                                      // 00000000EB80: BF0A4252
	s_cselect_b32 s21, s36, s60                                // 00000000EB84: 85153C24
	s_mov_b64 exec, s[20:21]                                   // 00000000EB88: BEFE0114
	global_atomic_add_f32 v6, v156, s[8:9]                     // 00000000EB8C: DD348000 00089C06
	global_atomic_add_f32 v6, v160, s[8:9] offset:256          // 00000000EB94: DD348100 0008A006
	global_atomic_add_f32 v6, v164, s[8:9] offset:512          // 00000000EB9C: DD348200 0008A406
	global_atomic_add_f32 v6, v168, s[8:9] offset:768          // 00000000EBA4: DD348300 0008A806
	s_mov_b64 exec, s[36:37]                                   // 00000000EBAC: BEFE0124
	v_mov_b32_e32 v6, v51                                      // 00000000EBB0: 7E0C0333
	s_mov_b64 s[60:61], 0                                      // 00000000EBB4: BEBC0180
	v_readlane_b32 s82, v3, 10                                 // 00000000EBB8: D2890052 00011503
	s_and_b32 s82, s82, 0xffffff                               // 00000000EBC0: 8652FF52 00FFFFFF
	s_cmp_lt_u32 s82, s66                                      // 00000000EBC8: BF0A4252
	s_cselect_b32 s20, s36, s60                                // 00000000EBCC: 85143C24
	v_readlane_b32 s82, v3, 11                                 // 00000000EBD0: D2890052 00011703
	s_and_b32 s82, s82, 0xffffff                               // 00000000EBD8: 8652FF52 00FFFFFF
	s_cmp_lt_u32 s82, s66                                      // 00000000EBE0: BF0A4252
	s_cselect_b32 s21, s36, s60                                // 00000000EBE4: 85153C24
	s_mov_b64 exec, s[20:21]                                   // 00000000EBE8: BEFE0114
	global_atomic_add_f32 v6, v157, s[8:9]                     // 00000000EBEC: DD348000 00089D06
	global_atomic_add_f32 v6, v161, s[8:9] offset:256          // 00000000EBF4: DD348100 0008A106
	global_atomic_add_f32 v6, v165, s[8:9] offset:512          // 00000000EBFC: DD348200 0008A506
	global_atomic_add_f32 v6, v169, s[8:9] offset:768          // 00000000EC04: DD348300 0008A906
	s_mov_b64 exec, s[36:37]                                   // 00000000EC0C: BEFE0124
	v_mov_b32_e32 v6, v52                                      // 00000000EC10: 7E0C0334
	s_mov_b64 s[60:61], 0                                      // 00000000EC14: BEBC0180
	v_readlane_b32 s82, v3, 12                                 // 00000000EC18: D2890052 00011903
	s_and_b32 s82, s82, 0xffffff                               // 00000000EC20: 8652FF52 00FFFFFF
	s_cmp_lt_u32 s82, s66                                      // 00000000EC28: BF0A4252
	s_cselect_b32 s20, s36, s60                                // 00000000EC2C: 85143C24
	v_readlane_b32 s82, v3, 13                                 // 00000000EC30: D2890052 00011B03
	s_and_b32 s82, s82, 0xffffff                               // 00000000EC38: 8652FF52 00FFFFFF
	s_cmp_lt_u32 s82, s66                                      // 00000000EC40: BF0A4252
	s_cselect_b32 s21, s36, s60                                // 00000000EC44: 85153C24
	s_mov_b64 exec, s[20:21]                                   // 00000000EC48: BEFE0114
	global_atomic_add_f32 v6, v172, s[8:9]                     // 00000000EC4C: DD348000 0008AC06
	global_atomic_add_f32 v6, v176, s[8:9] offset:256          // 00000000EC54: DD348100 0008B006
	global_atomic_add_f32 v6, v180, s[8:9] offset:512          // 00000000EC5C: DD348200 0008B406
	global_atomic_add_f32 v6, v184, s[8:9] offset:768          // 00000000EC64: DD348300 0008B806
	s_mov_b64 exec, s[36:37]                                   // 00000000EC6C: BEFE0124
	v_mov_b32_e32 v6, v53                                      // 00000000EC70: 7E0C0335
	s_mov_b64 s[60:61], 0                                      // 00000000EC74: BEBC0180
	v_readlane_b32 s82, v3, 14                                 // 00000000EC78: D2890052 00011D03
	s_and_b32 s82, s82, 0xffffff                               // 00000000EC80: 8652FF52 00FFFFFF
	s_cmp_lt_u32 s82, s66                                      // 00000000EC88: BF0A4252
	s_cselect_b32 s20, s36, s60                                // 00000000EC8C: 85143C24
	v_readlane_b32 s82, v3, 15                                 // 00000000EC90: D2890052 00011F03
	s_and_b32 s82, s82, 0xffffff                               // 00000000EC98: 8652FF52 00FFFFFF
	s_cmp_lt_u32 s82, s66                                      // 00000000ECA0: BF0A4252
	s_cselect_b32 s21, s36, s60                                // 00000000ECA4: 85153C24
	s_mov_b64 exec, s[20:21]                                   // 00000000ECA8: BEFE0114
	global_atomic_add_f32 v6, v173, s[8:9]                     // 00000000ECAC: DD348000 0008AD06
	global_atomic_add_f32 v6, v177, s[8:9] offset:256          // 00000000ECB4: DD348100 0008B106
	global_atomic_add_f32 v6, v181, s[8:9] offset:512          // 00000000ECBC: DD348200 0008B506
	global_atomic_add_f32 v6, v185, s[8:9] offset:768          // 00000000ECC4: DD348300 0008B906
	s_mov_b64 exec, s[36:37]                                   // 00000000ECCC: BEFE0124
	ds_write_b64 v20, v[126:127]                               // 00000000ECD0: D89A0000 00007E14
	ds_write_b64 v20, v[130:131] offset:8704                   // 00000000ECD8: D89A2200 00008214
	ds_write_b64 v20, v[134:135] offset:17408                  // 00000000ECE0: D89A4400 00008614
	ds_write_b64 v20, v[138:139] offset:26112                  // 00000000ECE8: D89A6600 00008A14
	ds_write_b64 v20, v[142:143] offset:2176                   // 00000000ECF0: D89A0880 00008E14
	ds_write_b64 v20, v[146:147] offset:10880                  // 00000000ECF8: D89A2A80 00009214
	ds_write_b64 v20, v[150:151] offset:19584                  // 00000000ED00: D89A4C80 00009614
	ds_write_b64 v20, v[154:155] offset:28288                  // 00000000ED08: D89A6E80 00009A14
	ds_write_b64 v20, v[158:159] offset:4352                   // 00000000ED10: D89A1100 00009E14
	ds_write_b64 v20, v[162:163] offset:13056                  // 00000000ED18: D89A3300 0000A214
	ds_write_b64 v20, v[166:167] offset:21760                  // 00000000ED20: D89A5500 0000A614
	ds_write_b64 v20, v[170:171] offset:30464                  // 00000000ED28: D89A7700 0000AA14
	ds_write_b64 v20, v[174:175] offset:6528                   // 00000000ED30: D89A1980 0000AE14
	ds_write_b64 v20, v[178:179] offset:15232                  // 00000000ED38: D89A3B80 0000B214
	ds_write_b64 v20, v[182:183] offset:23936                  // 00000000ED40: D89A5D80 0000B614
	ds_write_b64 v20, v[186:187] offset:32640                  // 00000000ED48: D89A7F80 0000BA14
	s_waitcnt lgkmcnt(0)                                       // 00000000ED50: BF8CC07F
	s_barrier                                                  // 00000000ED54: BF8A0000
	ds_read_b32 v126, v21                                      // 00000000ED58: D86C0000 7E000015
	ds_read_b32 v127, v21 offset:64                            // 00000000ED60: D86C0040 7F000015
	ds_read_b32 v130, v21 offset:2176                          // 00000000ED68: D86C0880 82000015
	ds_read_b32 v131, v21 offset:2240                          // 00000000ED70: D86C08C0 83000015
	ds_read_b32 v134, v21 offset:4352                          // 00000000ED78: D86C1100 86000015
	ds_read_b32 v135, v21 offset:4416                          // 00000000ED80: D86C1140 87000015
	ds_read_b32 v138, v21 offset:6528                          // 00000000ED88: D86C1980 8A000015
	ds_read_b32 v139, v21 offset:6592                          // 00000000ED90: D86C19C0 8B000015
	ds_read_b32 v142, v21 offset:8704                          // 00000000ED98: D86C2200 8E000015
	ds_read_b32 v143, v21 offset:8768                          // 00000000EDA0: D86C2240 8F000015
	ds_read_b32 v146, v21 offset:10880                         // 00000000EDA8: D86C2A80 92000015
	ds_read_b32 v147, v21 offset:10944                         // 00000000EDB0: D86C2AC0 93000015
	ds_read_b32 v150, v21 offset:13056                         // 00000000EDB8: D86C3300 96000015
	ds_read_b32 v151, v21 offset:13120                         // 00000000EDC0: D86C3340 97000015
	ds_read_b32 v154, v21 offset:15232                         // 00000000EDC8: D86C3B80 9A000015
	ds_read_b32 v155, v21 offset:15296                         // 00000000EDD0: D86C3BC0 9B000015
	ds_read_b32 v158, v21 offset:17408                         // 00000000EDD8: D86C4400 9E000015
	ds_read_b32 v159, v21 offset:17472                         // 00000000EDE0: D86C4440 9F000015
	ds_read_b32 v162, v21 offset:19584                         // 00000000EDE8: D86C4C80 A2000015
	ds_read_b32 v163, v21 offset:19648                         // 00000000EDF0: D86C4CC0 A3000015
	ds_read_b32 v166, v21 offset:21760                         // 00000000EDF8: D86C5500 A6000015
	ds_read_b32 v167, v21 offset:21824                         // 00000000EE00: D86C5540 A7000015
	ds_read_b32 v170, v21 offset:23936                         // 00000000EE08: D86C5D80 AA000015
	ds_read_b32 v171, v21 offset:24000                         // 00000000EE10: D86C5DC0 AB000015
	ds_read_b32 v174, v21 offset:26112                         // 00000000EE18: D86C6600 AE000015
	ds_read_b32 v175, v21 offset:26176                         // 00000000EE20: D86C6640 AF000015
	ds_read_b32 v178, v21 offset:28288                         // 00000000EE28: D86C6E80 B2000015
	ds_read_b32 v179, v21 offset:28352                         // 00000000EE30: D86C6EC0 B3000015
	ds_read_b32 v182, v21 offset:30464                         // 00000000EE38: D86C7700 B6000015
	ds_read_b32 v183, v21 offset:30528                         // 00000000EE40: D86C7740 B7000015
	ds_read_b32 v186, v21 offset:32640                         // 00000000EE48: D86C7F80 BA000015
	ds_read_b32 v187, v21 offset:32704                         // 00000000EE50: D86C7FC0 BB000015
	s_waitcnt lgkmcnt(0)                                       // 00000000EE58: BF8CC07F
	v_mov_b32_e32 v7, 0                                        // 00000000EE5C: 7E0E0280
	s_mov_b64 exec, s[36:37]                                   // 00000000EE60: BEFE0124
	v_mov_b32_e32 v6, v46                                      // 00000000EE64: 7E0C032E
	s_mov_b64 s[60:61], 0                                      // 00000000EE68: BEBC0180
	v_readlane_b32 s82, v3, 0                                  // 00000000EE6C: D2890052 00010103
	s_and_b32 s82, s82, 0xffffff                               // 00000000EE74: 8652FF52 00FFFFFF
	s_cmp_lt_u32 s82, s66                                      // 00000000EE7C: BF0A4252
	s_cselect_b32 s20, s36, s60                                // 00000000EE80: 85143C24
	v_readlane_b32 s82, v3, 1                                  // 00000000EE84: D2890052 00010303
	s_and_b32 s82, s82, 0xffffff                               // 00000000EE8C: 8652FF52 00FFFFFF
	s_cmp_lt_u32 s82, s66                                      // 00000000EE94: BF0A4252
	s_cselect_b32 s21, s36, s60                                // 00000000EE98: 85153C24
	s_mov_b64 exec, s[20:21]                                   // 00000000EE9C: BEFE0114
	global_atomic_add_f32 v6, v126, s[8:9] offset:8            // 00000000EEA0: DD348008 00087E06
	global_atomic_add_f32 v6, v130, s[8:9] offset:264          // 00000000EEA8: DD348108 00088206
	global_atomic_add_f32 v6, v134, s[8:9] offset:520          // 00000000EEB0: DD348208 00088606
	global_atomic_add_f32 v6, v138, s[8:9] offset:776          // 00000000EEB8: DD348308 00088A06
	s_mov_b64 exec, s[36:37]                                   // 00000000EEC0: BEFE0124
	v_mov_b32_e32 v6, v47                                      // 00000000EEC4: 7E0C032F
	s_mov_b64 s[60:61], 0                                      // 00000000EEC8: BEBC0180
	v_readlane_b32 s82, v3, 2                                  // 00000000EECC: D2890052 00010503
	s_and_b32 s82, s82, 0xffffff                               // 00000000EED4: 8652FF52 00FFFFFF
	s_cmp_lt_u32 s82, s66                                      // 00000000EEDC: BF0A4252
	s_cselect_b32 s20, s36, s60                                // 00000000EEE0: 85143C24
	v_readlane_b32 s82, v3, 3                                  // 00000000EEE4: D2890052 00010703
	s_and_b32 s82, s82, 0xffffff                               // 00000000EEEC: 8652FF52 00FFFFFF
	s_cmp_lt_u32 s82, s66                                      // 00000000EEF4: BF0A4252
	s_cselect_b32 s21, s36, s60                                // 00000000EEF8: 85153C24
	s_mov_b64 exec, s[20:21]                                   // 00000000EEFC: BEFE0114
	global_atomic_add_f32 v6, v127, s[8:9] offset:8            // 00000000EF00: DD348008 00087F06
	global_atomic_add_f32 v6, v131, s[8:9] offset:264          // 00000000EF08: DD348108 00088306
	global_atomic_add_f32 v6, v135, s[8:9] offset:520          // 00000000EF10: DD348208 00088706
	global_atomic_add_f32 v6, v139, s[8:9] offset:776          // 00000000EF18: DD348308 00088B06
	s_mov_b64 exec, s[36:37]                                   // 00000000EF20: BEFE0124
	v_mov_b32_e32 v6, v48                                      // 00000000EF24: 7E0C0330
	s_mov_b64 s[60:61], 0                                      // 00000000EF28: BEBC0180
	v_readlane_b32 s82, v3, 4                                  // 00000000EF2C: D2890052 00010903
	s_and_b32 s82, s82, 0xffffff                               // 00000000EF34: 8652FF52 00FFFFFF
	s_cmp_lt_u32 s82, s66                                      // 00000000EF3C: BF0A4252
	s_cselect_b32 s20, s36, s60                                // 00000000EF40: 85143C24
	v_readlane_b32 s82, v3, 5                                  // 00000000EF44: D2890052 00010B03
	s_and_b32 s82, s82, 0xffffff                               // 00000000EF4C: 8652FF52 00FFFFFF
	s_cmp_lt_u32 s82, s66                                      // 00000000EF54: BF0A4252
	s_cselect_b32 s21, s36, s60                                // 00000000EF58: 85153C24
	s_mov_b64 exec, s[20:21]                                   // 00000000EF5C: BEFE0114
	global_atomic_add_f32 v6, v142, s[8:9] offset:8            // 00000000EF60: DD348008 00088E06
	global_atomic_add_f32 v6, v146, s[8:9] offset:264          // 00000000EF68: DD348108 00089206
	global_atomic_add_f32 v6, v150, s[8:9] offset:520          // 00000000EF70: DD348208 00089606
	global_atomic_add_f32 v6, v154, s[8:9] offset:776          // 00000000EF78: DD348308 00089A06
	s_mov_b64 exec, s[36:37]                                   // 00000000EF80: BEFE0124
	v_mov_b32_e32 v6, v49                                      // 00000000EF84: 7E0C0331
	s_mov_b64 s[60:61], 0                                      // 00000000EF88: BEBC0180
	v_readlane_b32 s82, v3, 6                                  // 00000000EF8C: D2890052 00010D03
	s_and_b32 s82, s82, 0xffffff                               // 00000000EF94: 8652FF52 00FFFFFF
	s_cmp_lt_u32 s82, s66                                      // 00000000EF9C: BF0A4252
	s_cselect_b32 s20, s36, s60                                // 00000000EFA0: 85143C24
	v_readlane_b32 s82, v3, 7                                  // 00000000EFA4: D2890052 00010F03
	s_and_b32 s82, s82, 0xffffff                               // 00000000EFAC: 8652FF52 00FFFFFF
	s_cmp_lt_u32 s82, s66                                      // 00000000EFB4: BF0A4252
	s_cselect_b32 s21, s36, s60                                // 00000000EFB8: 85153C24
	s_mov_b64 exec, s[20:21]                                   // 00000000EFBC: BEFE0114
	global_atomic_add_f32 v6, v143, s[8:9] offset:8            // 00000000EFC0: DD348008 00088F06
	global_atomic_add_f32 v6, v147, s[8:9] offset:264          // 00000000EFC8: DD348108 00089306
	global_atomic_add_f32 v6, v151, s[8:9] offset:520          // 00000000EFD0: DD348208 00089706
	global_atomic_add_f32 v6, v155, s[8:9] offset:776          // 00000000EFD8: DD348308 00089B06
	s_mov_b64 exec, s[36:37]                                   // 00000000EFE0: BEFE0124
	v_mov_b32_e32 v6, v50                                      // 00000000EFE4: 7E0C0332
	s_mov_b64 s[60:61], 0                                      // 00000000EFE8: BEBC0180
	v_readlane_b32 s82, v3, 8                                  // 00000000EFEC: D2890052 00011103
	s_and_b32 s82, s82, 0xffffff                               // 00000000EFF4: 8652FF52 00FFFFFF
	s_cmp_lt_u32 s82, s66                                      // 00000000EFFC: BF0A4252
	s_cselect_b32 s20, s36, s60                                // 00000000F000: 85143C24
	v_readlane_b32 s82, v3, 9                                  // 00000000F004: D2890052 00011303
	s_and_b32 s82, s82, 0xffffff                               // 00000000F00C: 8652FF52 00FFFFFF
	s_cmp_lt_u32 s82, s66                                      // 00000000F014: BF0A4252
	s_cselect_b32 s21, s36, s60                                // 00000000F018: 85153C24
	s_mov_b64 exec, s[20:21]                                   // 00000000F01C: BEFE0114
	global_atomic_add_f32 v6, v158, s[8:9] offset:8            // 00000000F020: DD348008 00089E06
	global_atomic_add_f32 v6, v162, s[8:9] offset:264          // 00000000F028: DD348108 0008A206
	global_atomic_add_f32 v6, v166, s[8:9] offset:520          // 00000000F030: DD348208 0008A606
	global_atomic_add_f32 v6, v170, s[8:9] offset:776          // 00000000F038: DD348308 0008AA06
	s_mov_b64 exec, s[36:37]                                   // 00000000F040: BEFE0124
	v_mov_b32_e32 v6, v51                                      // 00000000F044: 7E0C0333
	s_mov_b64 s[60:61], 0                                      // 00000000F048: BEBC0180
	v_readlane_b32 s82, v3, 10                                 // 00000000F04C: D2890052 00011503
	s_and_b32 s82, s82, 0xffffff                               // 00000000F054: 8652FF52 00FFFFFF
	s_cmp_lt_u32 s82, s66                                      // 00000000F05C: BF0A4252
	s_cselect_b32 s20, s36, s60                                // 00000000F060: 85143C24
	v_readlane_b32 s82, v3, 11                                 // 00000000F064: D2890052 00011703
	s_and_b32 s82, s82, 0xffffff                               // 00000000F06C: 8652FF52 00FFFFFF
	s_cmp_lt_u32 s82, s66                                      // 00000000F074: BF0A4252
	s_cselect_b32 s21, s36, s60                                // 00000000F078: 85153C24
	s_mov_b64 exec, s[20:21]                                   // 00000000F07C: BEFE0114
	global_atomic_add_f32 v6, v159, s[8:9] offset:8            // 00000000F080: DD348008 00089F06
	global_atomic_add_f32 v6, v163, s[8:9] offset:264          // 00000000F088: DD348108 0008A306
	global_atomic_add_f32 v6, v167, s[8:9] offset:520          // 00000000F090: DD348208 0008A706
	global_atomic_add_f32 v6, v171, s[8:9] offset:776          // 00000000F098: DD348308 0008AB06
	s_mov_b64 exec, s[36:37]                                   // 00000000F0A0: BEFE0124
	v_mov_b32_e32 v6, v52                                      // 00000000F0A4: 7E0C0334
	s_mov_b64 s[60:61], 0                                      // 00000000F0A8: BEBC0180
	v_readlane_b32 s82, v3, 12                                 // 00000000F0AC: D2890052 00011903
	s_and_b32 s82, s82, 0xffffff                               // 00000000F0B4: 8652FF52 00FFFFFF
	s_cmp_lt_u32 s82, s66                                      // 00000000F0BC: BF0A4252
	s_cselect_b32 s20, s36, s60                                // 00000000F0C0: 85143C24
	v_readlane_b32 s82, v3, 13                                 // 00000000F0C4: D2890052 00011B03
	s_and_b32 s82, s82, 0xffffff                               // 00000000F0CC: 8652FF52 00FFFFFF
	s_cmp_lt_u32 s82, s66                                      // 00000000F0D4: BF0A4252
	s_cselect_b32 s21, s36, s60                                // 00000000F0D8: 85153C24
	s_mov_b64 exec, s[20:21]                                   // 00000000F0DC: BEFE0114
	global_atomic_add_f32 v6, v174, s[8:9] offset:8            // 00000000F0E0: DD348008 0008AE06
	global_atomic_add_f32 v6, v178, s[8:9] offset:264          // 00000000F0E8: DD348108 0008B206
	global_atomic_add_f32 v6, v182, s[8:9] offset:520          // 00000000F0F0: DD348208 0008B606
	global_atomic_add_f32 v6, v186, s[8:9] offset:776          // 00000000F0F8: DD348308 0008BA06
	s_mov_b64 exec, s[36:37]                                   // 00000000F100: BEFE0124
	v_mov_b32_e32 v6, v53                                      // 00000000F104: 7E0C0335
	s_mov_b64 s[60:61], 0                                      // 00000000F108: BEBC0180
	v_readlane_b32 s82, v3, 14                                 // 00000000F10C: D2890052 00011D03
	s_and_b32 s82, s82, 0xffffff                               // 00000000F114: 8652FF52 00FFFFFF
	s_cmp_lt_u32 s82, s66                                      // 00000000F11C: BF0A4252
	s_cselect_b32 s20, s36, s60                                // 00000000F120: 85143C24
	v_readlane_b32 s82, v3, 15                                 // 00000000F124: D2890052 00011F03
	s_and_b32 s82, s82, 0xffffff                               // 00000000F12C: 8652FF52 00FFFFFF
	s_cmp_lt_u32 s82, s66                                      // 00000000F134: BF0A4252
	s_cselect_b32 s21, s36, s60                                // 00000000F138: 85153C24
	s_mov_b64 exec, s[20:21]                                   // 00000000F13C: BEFE0114
	global_atomic_add_f32 v6, v175, s[8:9] offset:8            // 00000000F140: DD348008 0008AF06
	global_atomic_add_f32 v6, v179, s[8:9] offset:264          // 00000000F148: DD348108 0008B306
	global_atomic_add_f32 v6, v183, s[8:9] offset:520          // 00000000F150: DD348208 0008B706
	global_atomic_add_f32 v6, v187, s[8:9] offset:776          // 00000000F158: DD348308 0008BB06
	s_mov_b64 exec, s[36:37]                                   // 00000000F160: BEFE0124
	s_branch label_31DD                                        // 00000000F164: BF820000

000000000000f168 <label_31DD>:
	s_waitcnt vmcnt(0) expcnt(0) lgkmcnt(0)                    // 00000000F168: BF8C0000
	s_endpgm                                                   // 00000000F16C: BF810000
